;; amdgpu-corpus repo=ROCm/aiter kind=harvested arch=n/a opt=n/a

/root/src/amdgpu-assembly/repos/ROCm__aiter/hsa/gfx950/f4gemm/f4gemm_bf16_per1x32Fp4_BpreShuffle_192x128.co:	file format elf64-amdgpu

Disassembly of section .text:

0000000000002c00 <_ZN5aiter42f4gemm_bf16_per1x32Fp4_BpreShuffle_192x128E>:
	s_and_b32 s1, s1, 0xffff                                   // 000000002C00: 8601FF01 0000FFFF
	s_load_dwordx2 s[4:5], s[0:1], 0x0                         // 000000002C08: C0060100 00000000
	s_load_dwordx2 s[8:9], s[0:1], 0x10                        // 000000002C10: C0060200 00000010
	s_load_dwordx2 s[12:13], s[0:1], 0x20                      // 000000002C18: C0060300 00000020
	s_load_dwordx2 s[16:17], s[0:1], 0x30                      // 000000002C20: C0060400 00000030
	s_load_dword s41, s[0:1], 0x40                             // 000000002C28: C0020A40 00000040
	s_load_dword s42, s[0:1], 0x50                             // 000000002C30: C0020A80 00000050
	s_load_dword s36, s[0:1], 0x80                             // 000000002C38: C0020900 00000080
	s_load_dword s37, s[0:1], 0xa0                             // 000000002C40: C0020940 000000A0
	s_load_dword s38, s[0:1], 0xc0                             // 000000002C48: C0020980 000000C0
	s_load_dword s43, s[0:1], 0xe0                             // 000000002C50: C0020AC0 000000E0
	s_load_dword s44, s[0:1], 0xf0                             // 000000002C58: C0020B00 000000F0
	s_load_dword s45, s[0:1], 0x100                            // 000000002C60: C0020B40 00000100
	s_load_dwordx2 s[20:21], s[0:1], 0x110                     // 000000002C68: C0060500 00000110
	s_load_dwordx2 s[24:25], s[0:1], 0x120                     // 000000002C70: C0060600 00000120
	s_load_dword s39, s[0:1], 0x130                            // 000000002C78: C00209C0 00000130
	s_load_dword s40, s[0:1], 0x150                            // 000000002C80: C0020A00 00000150
	v_lshrrev_b32_e32 v1, 10, v0                               // 000000002C88: 2002008A
	v_lshrrev_b32_e32 v2, 10, v1                               // 000000002C8C: 2004028A
	v_and_b32_e32 v2, 0x3ff, v2                                // 000000002C90: 260404FF 000003FF
	v_and_b32_e32 v1, 0x3ff, v1                                // 000000002C98: 260202FF 000003FF
	v_and_b32_e32 v0, 0x3ff, v0                                // 000000002CA0: 260000FF 000003FF
	v_lshrrev_b32_e32 v3, 6, v0                                // 000000002CA8: 20060086
	v_and_b32_e32 v0, 63, v0                                   // 000000002CAC: 260000BF
	s_mov_b32 s47, s2                                          // 000000002CB0: BEAF0002
	s_mov_b32 s48, s3                                          // 000000002CB4: BEB00003
	v_readfirstlane_b32 s46, v3                                // 000000002CB8: 7E5C0503
	s_waitcnt lgkmcnt(0)                                       // 000000002CBC: BF8CC07F
	s_add_u32 s51, s44, 0x7f                                   // 000000002CC0: 8033FF2C 0000007F
	s_lshr_b32 s50, s51, 7                                     // 000000002CC8: 8F328733
	s_mul_i32 s49, s50, s48                                    // 000000002CCC: 92313032
	s_add_i32 s49, s49, s47                                    // 000000002CD0: 81312F31
	s_add_u32 s51, s43, 0xbf                                   // 000000002CD4: 8033FF2B 000000BF
	s_mov_b32 s63, 0xc0                                        // 000000002CDC: BEBF00FF 000000C0
	v_cvt_f32_u32_e32 v4, s63                                  // 000000002CE4: 7E080C3F
	s_sub_i32 s62, 0, s63                                      // 000000002CE8: 81BE3F80
	v_rcp_iflag_f32_e32 v4, v4                                 // 000000002CEC: 7E084704
	s_nop 0                                                    // 000000002CF0: BF800000
	v_mul_f32_e32 v4, 0x4f7ffffe, v4                           // 000000002CF4: 0A0808FF 4F7FFFFE
	v_cvt_u32_f32_e32 v4, v4                                   // 000000002CFC: 7E080F04
	v_mul_lo_u32 v5, s62, v4                                   // 000000002D00: D2850005 0002083E
	v_mul_hi_u32 v5, v4, v5                                    // 000000002D08: D2860005 00020B04
	v_add_u32_e32 v4, v4, v5                                   // 000000002D10: 68080B04
	v_mul_hi_u32 v4, s51, v4                                   // 000000002D14: D2860004 00020833
	v_mul_lo_u32 v5, v4, s63                                   // 000000002D1C: D2850005 00007F04
	v_sub_u32_e32 v7, s51, v5                                  // 000000002D24: 6A0E0A33
	v_add_u32_e32 v6, 1, v4                                    // 000000002D28: 680C0881
	v_cmp_le_u32_e32 vcc, s63, v7                              // 000000002D2C: 7D960E3F
	v_subrev_u32_e32 v5, s63, v7                               // 000000002D30: 6C0A0E3F
	s_nop 0                                                    // 000000002D34: BF800000
	v_cndmask_b32_e32 v4, v4, v6, vcc                          // 000000002D38: 00080D04
	v_cndmask_b32_e32 v7, v7, v5, vcc                          // 000000002D3C: 000E0B07
	v_add_u32_e32 v5, 1, v4                                    // 000000002D40: 680A0881
	v_cmp_le_u32_e32 vcc, s63, v7                              // 000000002D44: 7D960E3F
	s_nop 1                                                    // 000000002D48: BF800001
	v_cndmask_b32_e32 v7, v4, v5, vcc                          // 000000002D4C: 000E0B04
	s_nop 3                                                    // 000000002D50: BF800003
	v_readfirstlane_b32 s62, v7                                // 000000002D54: 7E7C0507
	s_nop 3                                                    // 000000002D58: BF800003
	s_lshl_b32 s62, s62, 5                                     // 000000002D5C: 8E3E853E
	s_mov_b32 s47, 0                                           // 000000002D60: BEAF0080

0000000000002d64 <label_0059>:
	s_cmp_lt_i32 s49, s62                                      // 000000002D64: BF043E31
	s_cbranch_scc1 label_005E                                  // 000000002D68: BF850003
	s_sub_i32 s49, s49, s62                                    // 000000002D6C: 81B13E31
	s_add_i32 s47, s47, 32                                     // 000000002D70: 812FA02F
	s_branch label_0059                                        // 000000002D74: BF82FFFB

0000000000002d78 <label_005E>:
	s_sub_i32 s50, s50, s47                                    // 000000002D78: 81B22F32
	s_cmp_lt_i32 s50, 32                                       // 000000002D7C: BF04A032
	s_cbranch_scc1 label_0064                                  // 000000002D80: BF850003
	s_lshr_b32 s48, s49, 5                                     // 000000002D84: 8F308531
	s_and_b32 s62, s49, 31                                     // 000000002D88: 863E9F31
	s_branch label_0084                                        // 000000002D8C: BF820020

0000000000002d90 <label_0064>:
	v_cvt_f32_u32_e32 v4, s50                                  // 000000002D90: 7E080C32
	s_sub_i32 s48, 0, s50                                      // 000000002D94: 81B03280
	v_rcp_iflag_f32_e32 v4, v4                                 // 000000002D98: 7E084704
	s_nop 0                                                    // 000000002D9C: BF800000
	v_mul_f32_e32 v4, 0x4f7ffffe, v4                           // 000000002DA0: 0A0808FF 4F7FFFFE
	v_cvt_u32_f32_e32 v4, v4                                   // 000000002DA8: 7E080F04
	v_mul_lo_u32 v5, s48, v4                                   // 000000002DAC: D2850005 00020830
	v_mul_hi_u32 v5, v4, v5                                    // 000000002DB4: D2860005 00020B04
	v_add_u32_e32 v4, v4, v5                                   // 000000002DBC: 68080B04
	v_mul_hi_u32 v4, s49, v4                                   // 000000002DC0: D2860004 00020831
	v_mul_lo_u32 v5, v4, s50                                   // 000000002DC8: D2850005 00006504
	v_sub_u32_e32 v7, s49, v5                                  // 000000002DD0: 6A0E0A31
	v_add_u32_e32 v6, 1, v4                                    // 000000002DD4: 680C0881
	v_cmp_le_u32_e32 vcc, s50, v7                              // 000000002DD8: 7D960E32
	v_subrev_u32_e32 v5, s50, v7                               // 000000002DDC: 6C0A0E32
	s_nop 0                                                    // 000000002DE0: BF800000
	v_cndmask_b32_e32 v4, v4, v6, vcc                          // 000000002DE4: 00080D04
	v_cndmask_b32_e32 v7, v7, v5, vcc                          // 000000002DE8: 000E0B07
	v_add_u32_e32 v5, 1, v4                                    // 000000002DEC: 680A0881
	v_cmp_le_u32_e32 vcc, s50, v7                              // 000000002DF0: 7D960E32
	s_nop 1                                                    // 000000002DF4: BF800001
	v_cndmask_b32_e32 v7, v4, v5, vcc                          // 000000002DF8: 000E0B04
	s_nop 3                                                    // 000000002DFC: BF800003
	v_readfirstlane_b32 s48, v7                                // 000000002E00: 7E600507
	s_nop 3                                                    // 000000002E04: BF800003
	s_mul_i32 s62, s50, s48                                    // 000000002E08: 923E3032
	s_sub_i32 s62, s49, s62                                    // 000000002E0C: 81BE3E31

0000000000002e10 <label_0084>:
	s_add_i32 s47, s62, s47                                    // 000000002E10: 812F2F3E
	s_lshr_b32 s37, s37, 1                                     // 000000002E14: 8F258125
	s_mul_i32 s62, s48, 0xc0                                   // 000000002E18: 923EFF30 000000C0
	s_mul_hi_u32 s63, s37, s62                                 // 000000002E20: 963F3E25
	s_add_u32 s13, s13, s63                                    // 000000002E24: 800D3F0D
	s_mul_i32 s63, s37, s62                                    // 000000002E28: 923F3E25
	s_add_u32 s12, s12, s63                                    // 000000002E2C: 800C3F0C
	s_addc_u32 s13, s13, 0                                     // 000000002E30: 820D800D
	s_sub_i32 s63, s43, s62                                    // 000000002E34: 81BF3E2B
	s_cmp_lt_u32 s63, 0xc0                                     // 000000002E38: BF0AFF3F 000000C0
	s_cselect_b32 s62, s63, 0xc0                               // 000000002E40: 853EFF3F 000000C0
	s_mul_i32 s14, s37, s62                                    // 000000002E48: 920E3E25
	s_mov_b32 s15, 0x20000                                     // 000000002E4C: BE8F00FF 00020000
	v_lshrrev_b32_e32 v4, 3, v0                                // 000000002E54: 20080083
	v_lshrrev_b32_e32 v5, 2, v4                                // 000000002E58: 200A0882
	v_lshlrev_b32_e32 v5, 4, v5                                // 000000002E5C: 240A0A84
	v_and_b32_e32 v4, 3, v4                                    // 000000002E60: 26080883
	v_lshrrev_b32_e32 v6, 1, v4                                // 000000002E64: 200C0881
	v_lshlrev_b32_e32 v6, 2, v6                                // 000000002E68: 240C0C82
	v_add_u32_e32 v5, v5, v6                                   // 000000002E6C: 680A0D05
	v_and_b32_e32 v4, 1, v4                                    // 000000002E70: 26080881
	v_add_u32_e32 v5, v5, v4                                   // 000000002E74: 680A0905
	v_mul_lo_u32 v178, s37, v5                                 // 000000002E78: D28500B2 00020A25
	v_and_b32_e32 v4, 7, v0                                    // 000000002E80: 26080087
	v_lshlrev_b32_e32 v4, 4, v4                                // 000000002E84: 24080884
	v_add_u32_e32 v178, v4, v178                               // 000000002E88: 69656504
	s_lshr_b32 s62, s46, 1                                     // 000000002E8C: 8F3E812E
	s_mul_i32 s62, s62, 8                                      // 000000002E90: 923E883E
	s_and_b32 s63, s46, 1                                      // 000000002E94: 863F812E
	s_mul_i32 s63, s63, 2                                      // 000000002E98: 923F823F
	s_add_u32 s62, s62, s63                                    // 000000002E9C: 803E3F3E
	s_mul_i32 s62, s37, s62                                    // 000000002EA0: 923E3E25
	v_add_u32_e32 v178, s62, v178                              // 000000002EA4: 6965643E
	s_mul_i32 s62, s37, 32                                     // 000000002EA8: 923EA025
	v_add_u32_e32 v179, s62, v178                              // 000000002EAC: 6967643E
	v_add_u32_e32 v180, s62, v179                              // 000000002EB0: 6969663E
	v_add_u32_e32 v181, s62, v180                              // 000000002EB4: 696B683E
	v_add_u32_e32 v182, s62, v181                              // 000000002EB8: 696D6A3E
	v_add_u32_e32 v183, s62, v182                              // 000000002EBC: 696F6C3E
	s_mul_i32 s64, 0x420, s46                                  // 000000002EC0: 92402EFF 00000420
	s_add_u32 s64, 0x2000, s64                                 // 000000002EC8: 804040FF 00002000
	v_and_b32_e32 v4, 15, v0                                   // 000000002ED0: 2608008F
	v_lshrrev_b32_e32 v5, 3, v4                                // 000000002ED4: 200A0883
	v_mul_i32_i24_e32 v5, 2, v5                                // 000000002ED8: 0C0A0A82
	v_and_b32_e32 v4, 3, v0                                    // 000000002EDC: 26080083
	v_lshrrev_b32_e32 v6, 1, v4                                // 000000002EE0: 200C0881
	v_add_u32_e32 v4, v5, v6                                   // 000000002EE4: 68080D05
	v_mul_i32_i24_e32 v184, 0x420, v4                          // 000000002EE8: 0D7008FF 00000420
	v_and_b32_e32 v4, 7, v0                                    // 000000002EF0: 26080087
	v_lshrrev_b32_e32 v5, 2, v4                                // 000000002EF4: 200A0882
	v_mul_i32_i24_e32 v5, 0x100, v5                            // 000000002EF8: 0C0A0AFF 00000100
	v_add_u32_e32 v184, v5, v184                               // 000000002F00: 69717105
	v_and_b32_e32 v4, 1, v0                                    // 000000002F04: 26080081
	v_mul_i32_i24_e32 v6, 0x80, v4                             // 000000002F08: 0C0C08FF 00000080
	v_add_u32_e32 v184, v6, v184                               // 000000002F10: 69717106
	v_lshrrev_b32_e32 v4, 4, v0                                // 000000002F14: 20080084
	v_mul_i32_i24_e32 v4, 16, v4                               // 000000002F18: 0C080890
	v_add_u32_e32 v184, v4, v184                               // 000000002F1C: 69717104
	v_add_u32_e32 v184, 0x2000, v184                           // 000000002F20: 697170FF 00002000
	v_add_u32_e32 v185, 0x6300, v184                           // 000000002F28: 697370FF 00006300
	v_add_u32_e32 v186, 0x6300, v185                           // 000000002F30: 697572FF 00006300
	v_add_u32_e32 v187, 0x6300, v186                           // 000000002F38: 697774FF 00006300
	s_mul_i32 s62, s48, 0xc0                                   // 000000002F40: 923EFF30 000000C0
	s_mul_hi_u32 s63, s39, s62                                 // 000000002F48: 963F3E27
	s_add_u32 s21, s21, s63                                    // 000000002F4C: 80153F15
	s_mul_i32 s63, s39, s62                                    // 000000002F50: 923F3E27
	s_add_u32 s20, s20, s63                                    // 000000002F54: 80143F14
	s_addc_u32 s21, s21, 0                                     // 000000002F58: 82158015
	s_add_u32 s63, s43, 31                                     // 000000002F5C: 803F9F2B
	s_lshr_b32 s63, s63, 5                                     // 000000002F60: 8F3F853F
	s_lshl_b32 s63, s63, 5                                     // 000000002F64: 8E3F853F
	s_sub_i32 s63, s63, s62                                    // 000000002F68: 81BF3E3F
	s_cmp_lt_u32 s63, 0xc0                                     // 000000002F6C: BF0AFF3F 000000C0
	s_cselect_b32 s62, s63, 0xc0                               // 000000002F74: 853EFF3F 000000C0
	s_mul_i32 s22, s39, s62                                    // 000000002F7C: 92163E27
	s_mov_b32 s23, 0x20000                                     // 000000002F80: BE9700FF 00020000
	v_lshlrev_b32_e32 v188, 2, v0                              // 000000002F88: 25780082
	s_mul_i32 s63, s46, 32                                     // 000000002F8C: 923FA02E
	s_mul_i32 s63, s63, s39                                    // 000000002F90: 923F273F
	v_add_u32_e32 v188, s63, v188                              // 000000002F94: 6979783F
	s_mul_i32 s63, 0x80, s39                                   // 000000002F98: 923F27FF 00000080
	v_add_u32_e32 v189, s63, v188                              // 000000002FA0: 697B783F
	s_mul_i32 s65, s46, 0x100                                  // 000000002FA4: 9241FF2E 00000100
	s_add_i32 s65, s65, 0                                      // 000000002FAC: 81418041
	v_lshlrev_b32_e32 v190, 2, v0                              // 000000002FB0: 257C0082
	v_add_u32_e32 v190, 0, v190                                // 000000002FB4: 697D7C80
	s_lshr_b32 s38, s38, 1                                     // 000000002FB8: 8F268126
	s_mul_i32 s62, s47, 0x80                                   // 000000002FBC: 923EFF2F 00000080
	s_mul_hi_u32 s63, s38, s62                                 // 000000002FC4: 963F3E26
	s_add_u32 s17, s17, s63                                    // 000000002FC8: 80113F11
	s_mul_i32 s63, s38, s62                                    // 000000002FCC: 923F3E26
	s_add_u32 s16, s16, s63                                    // 000000002FD0: 80103F10
	s_addc_u32 s17, s17, 0                                     // 000000002FD4: 82118011
	s_sub_i32 s63, s44, s62                                    // 000000002FD8: 81BF3E2C
	s_cmp_lt_u32 s63, 0x80                                     // 000000002FDC: BF0AFF3F 00000080
	s_cselect_b32 s62, s63, 0x80                               // 000000002FE4: 853EFF3F 00000080
	s_mul_i32 s18, s38, s62                                    // 000000002FEC: 92123E26
	s_mov_b32 s19, 0x20000                                     // 000000002FF0: BE9300FF 00020000
	v_lshlrev_b32_e32 v191, 4, v0                              // 000000002FF8: 257E0084
	s_mul_i32 s63, s46, 32                                     // 000000002FFC: 923FA02E
	s_mul_i32 s62, s63, s38                                    // 000000003000: 923E263F
	v_add_u32_e32 v191, s62, v191                              // 000000003004: 697F7E3E
	s_mul_i32 s62, 16, s38                                     // 000000003008: 923E2690
	v_add_u32_e32 v192, s62, v191                              // 00000000300C: 69817E3E
	s_mul_i32 s62, s47, 0x80                                   // 000000003010: 923EFF2F 00000080
	s_mul_hi_u32 s63, s40, s62                                 // 000000003018: 963F3E28
	s_add_u32 s25, s25, s63                                    // 00000000301C: 80193F19
	s_mul_i32 s63, s40, s62                                    // 000000003020: 923F3E28
	s_add_u32 s24, s24, s63                                    // 000000003024: 80183F18
	s_addc_u32 s25, s25, 0                                     // 000000003028: 82198019
	s_sub_i32 s63, s44, s62                                    // 00000000302C: 81BF3E2C
	s_cmp_lt_u32 s63, 0x80                                     // 000000003030: BF0AFF3F 00000080
	s_cselect_b32 s62, s63, 0x80                               // 000000003038: 853EFF3F 00000080
	s_mul_i32 s26, s40, s62                                    // 000000003040: 921A3E28
	s_mov_b32 s27, 0x20000                                     // 000000003044: BE9B00FF 00020000
	v_lshlrev_b32_e32 v193, 2, v0                              // 00000000304C: 25820082
	s_mul_i32 s63, s46, 32                                     // 000000003050: 923FA02E
	s_mul_i32 s63, s63, s40                                    // 000000003054: 923F283F
	v_add_u32_e32 v193, s63, v193                              // 000000003058: 6983823F
	s_mov_b32 s66, 0x80                                        // 00000000305C: BEC200FF 00000080
	s_mov_b32 s67, 0x800                                       // 000000003064: BEC300FF 00000800
	s_mov_b32 s68, 0x100                                       // 00000000306C: BEC400FF 00000100
	s_mov_b32 s69, 0x100                                       // 000000003074: BEC500FF 00000100
	s_mov_b32 s60, 0                                           // 00000000307C: BEBC0080
	s_mov_b32 s61, s45                                         // 000000003080: BEBD002D
	s_add_u32 m0, 0, s65                                       // 000000003084: 807C4180
	buffer_load_dword v188, s[20:23], 0 offen lds              // 000000003088: E0511000 800500BC
	v_accvgpr_write_b32 a0, 0                                  // 000000003090: D3D94000 18000080
	v_accvgpr_write_b32 a1, 0                                  // 000000003098: D3D94001 18000080
	v_accvgpr_write_b32 a2, 0                                  // 0000000030A0: D3D94002 18000080
	v_accvgpr_write_b32 a3, 0                                  // 0000000030A8: D3D94003 18000080
	v_accvgpr_write_b32 a4, 0                                  // 0000000030B0: D3D94004 18000080
	v_accvgpr_write_b32 a5, 0                                  // 0000000030B8: D3D94005 18000080
	s_add_u32 m0, 0x400, s65                                   // 0000000030C0: 807C41FF 00000400
	buffer_load_dword v189, s[20:23], 0 offen lds              // 0000000030C8: E0511000 800500BD
	v_accvgpr_write_b32 a6, 0                                  // 0000000030D0: D3D94006 18000080
	v_accvgpr_write_b32 a7, 0                                  // 0000000030D8: D3D94007 18000080
	v_accvgpr_write_b32 a8, 0                                  // 0000000030E0: D3D94008 18000080
	v_accvgpr_write_b32 a9, 0                                  // 0000000030E8: D3D94009 18000080
	v_accvgpr_write_b32 a10, 0                                 // 0000000030F0: D3D9400A 18000080
	v_accvgpr_write_b32 a11, 0                                 // 0000000030F8: D3D9400B 18000080
	s_add_u32 m0, 0, s64                                       // 000000003100: 807C4080
	buffer_load_dwordx4 v178, s[12:15], 0 offen lds            // 000000003104: E05D1000 800300B2
	v_accvgpr_write_b32 a12, 0                                 // 00000000310C: D3D9400C 18000080
	v_accvgpr_write_b32 a13, 0                                 // 000000003114: D3D9400D 18000080
	v_accvgpr_write_b32 a14, 0                                 // 00000000311C: D3D9400E 18000080
	v_accvgpr_write_b32 a15, 0                                 // 000000003124: D3D9400F 18000080
	v_accvgpr_write_b32 a16, 0                                 // 00000000312C: D3D94010 18000080
	v_accvgpr_write_b32 a17, 0                                 // 000000003134: D3D94011 18000080
	s_add_u32 m0, 0x1080, s64                                  // 00000000313C: 807C40FF 00001080
	buffer_load_dwordx4 v179, s[12:15], 0 offen lds            // 000000003144: E05D1000 800300B3
	v_accvgpr_write_b32 a18, 0                                 // 00000000314C: D3D94012 18000080
	v_accvgpr_write_b32 a19, 0                                 // 000000003154: D3D94013 18000080
	v_accvgpr_write_b32 a20, 0                                 // 00000000315C: D3D94014 18000080
	v_accvgpr_write_b32 a21, 0                                 // 000000003164: D3D94015 18000080
	v_accvgpr_write_b32 a22, 0                                 // 00000000316C: D3D94016 18000080
	v_accvgpr_write_b32 a23, 0                                 // 000000003174: D3D94017 18000080
	s_add_u32 m0, 0x2100, s64                                  // 00000000317C: 807C40FF 00002100
	buffer_load_dwordx4 v180, s[12:15], 0 offen lds            // 000000003184: E05D1000 800300B4
	v_accvgpr_write_b32 a24, 0                                 // 00000000318C: D3D94018 18000080
	v_accvgpr_write_b32 a25, 0                                 // 000000003194: D3D94019 18000080
	v_accvgpr_write_b32 a26, 0                                 // 00000000319C: D3D9401A 18000080
	v_accvgpr_write_b32 a27, 0                                 // 0000000031A4: D3D9401B 18000080
	v_accvgpr_write_b32 a28, 0                                 // 0000000031AC: D3D9401C 18000080
	v_accvgpr_write_b32 a29, 0                                 // 0000000031B4: D3D9401D 18000080
	s_add_u32 m0, 0x3180, s64                                  // 0000000031BC: 807C40FF 00003180
	buffer_load_dwordx4 v181, s[12:15], 0 offen lds            // 0000000031C4: E05D1000 800300B5
	v_accvgpr_write_b32 a30, 0                                 // 0000000031CC: D3D9401E 18000080
	v_accvgpr_write_b32 a31, 0                                 // 0000000031D4: D3D9401F 18000080
	v_accvgpr_write_b32 a32, 0                                 // 0000000031DC: D3D94020 18000080
	v_accvgpr_write_b32 a33, 0                                 // 0000000031E4: D3D94021 18000080
	v_accvgpr_write_b32 a34, 0                                 // 0000000031EC: D3D94022 18000080
	v_accvgpr_write_b32 a35, 0                                 // 0000000031F4: D3D94023 18000080
	s_add_u32 m0, 0x4200, s64                                  // 0000000031FC: 807C40FF 00004200
	buffer_load_dwordx4 v182, s[12:15], 0 offen lds            // 000000003204: E05D1000 800300B6
	v_accvgpr_write_b32 a36, 0                                 // 00000000320C: D3D94024 18000080
	v_accvgpr_write_b32 a37, 0                                 // 000000003214: D3D94025 18000080
	v_accvgpr_write_b32 a38, 0                                 // 00000000321C: D3D94026 18000080
	v_accvgpr_write_b32 a39, 0                                 // 000000003224: D3D94027 18000080
	v_accvgpr_write_b32 a40, 0                                 // 00000000322C: D3D94028 18000080
	v_accvgpr_write_b32 a41, 0                                 // 000000003234: D3D94029 18000080
	s_add_u32 m0, 0x5280, s64                                  // 00000000323C: 807C40FF 00005280
	buffer_load_dwordx4 v183, s[12:15], 0 offen lds            // 000000003244: E05D1000 800300B7
	v_accvgpr_write_b32 a42, 0                                 // 00000000324C: D3D9402A 18000080
	v_accvgpr_write_b32 a43, 0                                 // 000000003254: D3D9402B 18000080
	v_accvgpr_write_b32 a44, 0                                 // 00000000325C: D3D9402C 18000080
	v_accvgpr_write_b32 a45, 0                                 // 000000003264: D3D9402D 18000080
	v_accvgpr_write_b32 a46, 0                                 // 00000000326C: D3D9402E 18000080
	v_accvgpr_write_b32 a47, 0                                 // 000000003274: D3D9402F 18000080
	buffer_load_dwordx4 v[104:107], v191, s[16:19], 0 offen    // 00000000327C: E05C1000 800468BF
	v_accvgpr_write_b32 a48, 0                                 // 000000003284: D3D94030 18000080
	v_accvgpr_write_b32 a49, 0                                 // 00000000328C: D3D94031 18000080
	v_accvgpr_write_b32 a50, 0                                 // 000000003294: D3D94032 18000080
	v_accvgpr_write_b32 a51, 0                                 // 00000000329C: D3D94033 18000080
	v_accvgpr_write_b32 a52, 0                                 // 0000000032A4: D3D94034 18000080
	v_accvgpr_write_b32 a53, 0                                 // 0000000032AC: D3D94035 18000080
	buffer_load_dwordx4 v[108:111], v192, s[16:19], 0 offen    // 0000000032B4: E05C1000 80046CC0
	v_accvgpr_write_b32 a54, 0                                 // 0000000032BC: D3D94036 18000080
	v_accvgpr_write_b32 a55, 0                                 // 0000000032C4: D3D94037 18000080
	v_accvgpr_write_b32 a56, 0                                 // 0000000032CC: D3D94038 18000080
	v_accvgpr_write_b32 a57, 0                                 // 0000000032D4: D3D94039 18000080
	v_accvgpr_write_b32 a58, 0                                 // 0000000032DC: D3D9403A 18000080
	v_accvgpr_write_b32 a59, 0                                 // 0000000032E4: D3D9403B 18000080
	buffer_load_dwordx4 v[112:115], v191, s[16:19], 0 offen offset:1024// 0000000032EC: E05C1400 800470BF
	v_accvgpr_write_b32 a60, 0                                 // 0000000032F4: D3D9403C 18000080
	v_accvgpr_write_b32 a61, 0                                 // 0000000032FC: D3D9403D 18000080
	v_accvgpr_write_b32 a62, 0                                 // 000000003304: D3D9403E 18000080
	v_accvgpr_write_b32 a63, 0                                 // 00000000330C: D3D9403F 18000080
	v_accvgpr_write_b32 a64, 0                                 // 000000003314: D3D94040 18000080
	v_accvgpr_write_b32 a65, 0                                 // 00000000331C: D3D94041 18000080
	buffer_load_dwordx4 v[116:119], v192, s[16:19], 0 offen offset:1024// 000000003324: E05C1400 800474C0
	v_accvgpr_write_b32 a66, 0                                 // 00000000332C: D3D94042 18000080
	v_accvgpr_write_b32 a67, 0                                 // 000000003334: D3D94043 18000080
	v_accvgpr_write_b32 a68, 0                                 // 00000000333C: D3D94044 18000080
	v_accvgpr_write_b32 a69, 0                                 // 000000003344: D3D94045 18000080
	v_accvgpr_write_b32 a70, 0                                 // 00000000334C: D3D94046 18000080
	v_accvgpr_write_b32 a71, 0                                 // 000000003354: D3D94047 18000080
	buffer_load_dword v174, v193, s[24:27], 0 offen            // 00000000335C: E0501000 8006AEC1
	v_accvgpr_write_b32 a72, 0                                 // 000000003364: D3D94048 18000080
	v_accvgpr_write_b32 a73, 0                                 // 00000000336C: D3D94049 18000080
	v_accvgpr_write_b32 a74, 0                                 // 000000003374: D3D9404A 18000080
	v_accvgpr_write_b32 a75, 0                                 // 00000000337C: D3D9404B 18000080
	v_accvgpr_write_b32 a76, 0                                 // 000000003384: D3D9404C 18000080
	v_accvgpr_write_b32 a77, 0                                 // 00000000338C: D3D9404D 18000080
	s_add_u32 s62, 0x100, s60                                  // 000000003394: 803E3CFF 00000100
	s_cmp_lt_u32 s62, s61                                      // 00000000339C: BF0A3D3E
	s_cselect_b32 s66, s66, 0                                  // 0000000033A0: 85428042
	s_cselect_b32 s68, s68, 0                                  // 0000000033A4: 85448044
	s_add_u32 s12, s12, s66                                    // 0000000033A8: 800C420C
	s_addc_u32 s13, 0, s13                                     // 0000000033AC: 820D0D80
	s_sub_u32 s14, s14, s66                                    // 0000000033B0: 808E420E
	s_add_u32 s20, s20, s68                                    // 0000000033B4: 80144414
	s_addc_u32 s21, 0, s21                                     // 0000000033B8: 82151580
	s_sub_u32 s22, s22, s68                                    // 0000000033BC: 80964416
	s_add_u32 s63, 0x100, s60                                  // 0000000033C0: 803F3CFF 00000100
	s_cmp_lt_u32 s63, s61                                      // 0000000033C8: BF0A3D3F
	s_cselect_b32 s67, s67, 0                                  // 0000000033CC: 85438043
	s_cselect_b32 s69, s69, 0                                  // 0000000033D0: 85458045
	s_add_u32 s16, s16, s67                                    // 0000000033D4: 80104310
	s_addc_u32 s17, 0, s17                                     // 0000000033D8: 82111180
	s_sub_u32 s18, s18, s67                                    // 0000000033DC: 80924312
	s_add_u32 s24, s24, s69                                    // 0000000033E0: 80184518
	s_addc_u32 s25, 0, s25                                     // 0000000033E4: 82191980
	s_sub_u32 s26, s26, s69                                    // 0000000033E8: 809A451A
	s_add_u32 m0, 0x800, s65                                   // 0000000033EC: 807C41FF 00000800
	buffer_load_dword v188, s[20:23], 0 offen lds              // 0000000033F4: E0511000 800500BC
	v_accvgpr_write_b32 a78, 0                                 // 0000000033FC: D3D9404E 18000080
	v_accvgpr_write_b32 a79, 0                                 // 000000003404: D3D9404F 18000080
	v_accvgpr_write_b32 a80, 0                                 // 00000000340C: D3D94050 18000080
	v_accvgpr_write_b32 a81, 0                                 // 000000003414: D3D94051 18000080
	v_accvgpr_write_b32 a82, 0                                 // 00000000341C: D3D94052 18000080
	v_accvgpr_write_b32 a83, 0                                 // 000000003424: D3D94053 18000080
	s_add_u32 m0, 0xc00, s65                                   // 00000000342C: 807C41FF 00000C00
	buffer_load_dword v189, s[20:23], 0 offen lds              // 000000003434: E0511000 800500BD
	v_accvgpr_write_b32 a84, 0                                 // 00000000343C: D3D94054 18000080
	v_accvgpr_write_b32 a85, 0                                 // 000000003444: D3D94055 18000080
	v_accvgpr_write_b32 a86, 0                                 // 00000000344C: D3D94056 18000080
	v_accvgpr_write_b32 a87, 0                                 // 000000003454: D3D94057 18000080
	v_accvgpr_write_b32 a88, 0                                 // 00000000345C: D3D94058 18000080
	v_accvgpr_write_b32 a89, 0                                 // 000000003464: D3D94059 18000080
	s_add_u32 m0, 0x6300, s64                                  // 00000000346C: 807C40FF 00006300
	buffer_load_dwordx4 v178, s[12:15], 0 offen lds            // 000000003474: E05D1000 800300B2
	v_accvgpr_write_b32 a90, 0                                 // 00000000347C: D3D9405A 18000080
	v_accvgpr_write_b32 a91, 0                                 // 000000003484: D3D9405B 18000080
	v_accvgpr_write_b32 a92, 0                                 // 00000000348C: D3D9405C 18000080
	v_accvgpr_write_b32 a93, 0                                 // 000000003494: D3D9405D 18000080
	v_accvgpr_write_b32 a94, 0                                 // 00000000349C: D3D9405E 18000080
	v_accvgpr_write_b32 a95, 0                                 // 0000000034A4: D3D9405F 18000080
	s_add_u32 m0, 0x7380, s64                                  // 0000000034AC: 807C40FF 00007380
	buffer_load_dwordx4 v179, s[12:15], 0 offen lds            // 0000000034B4: E05D1000 800300B3
	s_add_u32 m0, 0x8400, s64                                  // 0000000034BC: 807C40FF 00008400
	buffer_load_dwordx4 v180, s[12:15], 0 offen lds            // 0000000034C4: E05D1000 800300B4
	s_add_u32 m0, 0x9480, s64                                  // 0000000034CC: 807C40FF 00009480
	buffer_load_dwordx4 v181, s[12:15], 0 offen lds            // 0000000034D4: E05D1000 800300B5
	s_add_u32 m0, 0xa500, s64                                  // 0000000034DC: 807C40FF 0000A500
	buffer_load_dwordx4 v182, s[12:15], 0 offen lds            // 0000000034E4: E05D1000 800300B6
	s_add_u32 m0, 0xb580, s64                                  // 0000000034EC: 807C40FF 0000B580
	buffer_load_dwordx4 v183, s[12:15], 0 offen lds            // 0000000034F4: E05D1000 800300B7
	buffer_load_dwordx4 v[120:123], v191, s[16:19], 0 offen    // 0000000034FC: E05C1000 800478BF
	buffer_load_dwordx4 v[124:127], v192, s[16:19], 0 offen    // 000000003504: E05C1000 80047CC0
	buffer_load_dwordx4 v[128:131], v191, s[16:19], 0 offen offset:1024// 00000000350C: E05C1400 800480BF
	buffer_load_dwordx4 v[132:135], v192, s[16:19], 0 offen offset:1024// 000000003514: E05C1400 800484C0
	buffer_load_dword v175, v193, s[24:27], 0 offen            // 00000000351C: E0501000 8006AFC1
	s_add_u32 s62, 0x200, s60                                  // 000000003524: 803E3CFF 00000200
	s_cmp_lt_u32 s62, s61                                      // 00000000352C: BF0A3D3E
	s_cselect_b32 s66, s66, 0                                  // 000000003530: 85428042
	s_cselect_b32 s68, s68, 0                                  // 000000003534: 85448044
	s_add_u32 s12, s12, s66                                    // 000000003538: 800C420C
	s_addc_u32 s13, 0, s13                                     // 00000000353C: 820D0D80
	s_sub_u32 s14, s14, s66                                    // 000000003540: 808E420E
	s_add_u32 s20, s20, s68                                    // 000000003544: 80144414
	s_addc_u32 s21, 0, s21                                     // 000000003548: 82151580
	s_sub_u32 s22, s22, s68                                    // 00000000354C: 80964416
	s_add_u32 s63, 0x200, s60                                  // 000000003550: 803F3CFF 00000200
	s_cmp_lt_u32 s63, s61                                      // 000000003558: BF0A3D3F
	s_cselect_b32 s67, s67, 0                                  // 00000000355C: 85438043
	s_cselect_b32 s69, s69, 0                                  // 000000003560: 85458045
	s_add_u32 s16, s16, s67                                    // 000000003564: 80104310
	s_addc_u32 s17, 0, s17                                     // 000000003568: 82111180
	s_sub_u32 s18, s18, s67                                    // 00000000356C: 80924312
	s_add_u32 s24, s24, s69                                    // 000000003570: 80184518
	s_addc_u32 s25, 0, s25                                     // 000000003574: 82191980
	s_sub_u32 s26, s26, s69                                    // 000000003578: 809A451A
	s_add_u32 m0, 0x1000, s65                                  // 00000000357C: 807C41FF 00001000
	buffer_load_dword v188, s[20:23], 0 offen lds              // 000000003584: E0511000 800500BC
	s_add_u32 m0, 0x1400, s65                                  // 00000000358C: 807C41FF 00001400
	buffer_load_dword v189, s[20:23], 0 offen lds              // 000000003594: E0511000 800500BD
	s_add_u32 m0, 0xc600, s64                                  // 00000000359C: 807C40FF 0000C600
	buffer_load_dwordx4 v178, s[12:15], 0 offen lds            // 0000000035A4: E05D1000 800300B2
	s_add_u32 m0, 0xd680, s64                                  // 0000000035AC: 807C40FF 0000D680
	buffer_load_dwordx4 v179, s[12:15], 0 offen lds            // 0000000035B4: E05D1000 800300B3
	s_add_u32 m0, 0xe700, s64                                  // 0000000035BC: 807C40FF 0000E700
	buffer_load_dwordx4 v180, s[12:15], 0 offen lds            // 0000000035C4: E05D1000 800300B4
	s_add_u32 m0, 0xf780, s64                                  // 0000000035CC: 807C40FF 0000F780
	buffer_load_dwordx4 v181, s[12:15], 0 offen lds            // 0000000035D4: E05D1000 800300B5
	s_add_u32 m0, 0x10800, s64                                 // 0000000035DC: 807C40FF 00010800
	buffer_load_dwordx4 v182, s[12:15], 0 offen lds            // 0000000035E4: E05D1000 800300B6
	s_add_u32 m0, 0x11880, s64                                 // 0000000035EC: 807C40FF 00011880
	buffer_load_dwordx4 v183, s[12:15], 0 offen lds            // 0000000035F4: E05D1000 800300B7
	buffer_load_dwordx4 v[136:139], v191, s[16:19], 0 offen    // 0000000035FC: E05C1000 800488BF
	buffer_load_dwordx4 v[140:143], v192, s[16:19], 0 offen    // 000000003604: E05C1000 80048CC0
	buffer_load_dwordx4 v[144:147], v191, s[16:19], 0 offen offset:1024// 00000000360C: E05C1400 800490BF
	buffer_load_dwordx4 v[148:151], v192, s[16:19], 0 offen offset:1024// 000000003614: E05C1400 800494C0
	buffer_load_dword v176, v193, s[24:27], 0 offen            // 00000000361C: E0501000 8006B0C1
	s_add_u32 s62, 0x300, s60                                  // 000000003624: 803E3CFF 00000300
	s_cmp_lt_u32 s62, s61                                      // 00000000362C: BF0A3D3E
	s_cselect_b32 s66, s66, 0                                  // 000000003630: 85428042
	s_cselect_b32 s68, s68, 0                                  // 000000003634: 85448044
	s_add_u32 s12, s12, s66                                    // 000000003638: 800C420C
	s_addc_u32 s13, 0, s13                                     // 00000000363C: 820D0D80
	s_sub_u32 s14, s14, s66                                    // 000000003640: 808E420E
	s_add_u32 s20, s20, s68                                    // 000000003644: 80144414
	s_addc_u32 s21, 0, s21                                     // 000000003648: 82151580
	s_sub_u32 s22, s22, s68                                    // 00000000364C: 80964416
	s_add_u32 s63, 0x300, s60                                  // 000000003650: 803F3CFF 00000300
	s_cmp_lt_u32 s63, s61                                      // 000000003658: BF0A3D3F
	s_cselect_b32 s67, s67, 0                                  // 00000000365C: 85438043
	s_cselect_b32 s69, s69, 0                                  // 000000003660: 85458045
	s_add_u32 s16, s16, s67                                    // 000000003664: 80104310
	s_addc_u32 s17, 0, s17                                     // 000000003668: 82111180
	s_sub_u32 s18, s18, s67                                    // 00000000366C: 80924312
	s_add_u32 s24, s24, s69                                    // 000000003670: 80184518
	s_addc_u32 s25, 0, s25                                     // 000000003674: 82191980
	s_sub_u32 s26, s26, s69                                    // 000000003678: 809A451A
	s_waitcnt vmcnt(35)                                        // 00000000367C: BF8C8F73
	s_barrier                                                  // 000000003680: BF8A0000
	ds_read_b128 v[8:11], v184                                 // 000000003684: D9FE0000 080000B8
	ds_read_b128 v[16:19], v184 offset:64                      // 00000000368C: D9FE0040 100000B8
	ds_read_b128 v[12:15], v184 offset:512                     // 000000003694: D9FE0200 0C0000B8
	ds_read_b128 v[20:23], v184 offset:576                     // 00000000369C: D9FE0240 140000B8
	ds_read_b32 v168, v190                                     // 0000000036A4: D86C0000 A80000BE
	ds_read_b128 v[24:27], v184 offset:4224                    // 0000000036AC: D9FE1080 180000B8
	ds_read_b128 v[32:35], v184 offset:4288                    // 0000000036B4: D9FE10C0 200000B8
	ds_read_b128 v[28:31], v184 offset:4736                    // 0000000036BC: D9FE1280 1C0000B8
	ds_read_b128 v[36:39], v184 offset:4800                    // 0000000036C4: D9FE12C0 240000B8
	ds_read_b32 v169, v190 offset:256                          // 0000000036CC: D86C0100 A90000BE
	s_nop 0                                                    // 0000000036D4: BF800000
	s_nop 0                                                    // 0000000036D8: BF800000
	s_nop 0                                                    // 0000000036DC: BF800000
	s_nop 0                                                    // 0000000036E0: BF800000
	s_nop 0                                                    // 0000000036E4: BF800000
	s_lshl_b32 s36, s36, 1                                     // 0000000036E8: 8E248124
	s_mul_i32 s62, s48, 0xc0                                   // 0000000036EC: 923EFF30 000000C0
	s_mul_hi_u32 s63, s36, s62                                 // 0000000036F4: 963F3E24
	s_add_u32 s5, s5, s63                                      // 0000000036F8: 80053F05
	s_mul_i32 s63, s36, s62                                    // 0000000036FC: 923F3E24
	s_add_u32 s4, s4, s63                                      // 000000003700: 80043F04
	s_addc_u32 s5, s5, 0                                       // 000000003704: 82058005
	s_mul_i32 s63, s47, 0x80                                   // 000000003708: 923FFF2F 00000080
	s_lshl_b32 s63, s63, 1                                     // 000000003710: 8E3F813F
	s_add_u32 s4, s4, s63                                      // 000000003714: 80043F04
	s_addc_u32 s5, s5, 0                                       // 000000003718: 82058005
	s_sub_i32 s62, s43, s62                                    // 00000000371C: 81BE3E2B
	s_cmp_lt_u32 s62, 0xc0                                     // 000000003720: BF0AFF3E 000000C0
	s_cselect_b32 s62, s62, 0xc0                               // 000000003728: 853EFF3E 000000C0
	s_mul_i32 s62, s36, s62                                    // 000000003730: 923E3E24
	s_sub_i32 s6, s62, s63                                     // 000000003734: 81863F3E
	s_mov_b32 s7, 0x20000                                      // 000000003738: BE8700FF 00020000
	s_mul_i32 s62, s46, 32                                     // 000000003740: 923EA02E
	s_lshl_b32 s62, s62, 1                                     // 000000003744: 8E3E813E
	v_lshrrev_b32_e32 v4, 5, v0                                // 000000003748: 20080085
	v_mul_i32_i24_e32 v4, 16, v4                               // 00000000374C: 0C080890
	v_lshrrev_b32_e32 v5, 4, v0                                // 000000003750: 200A0084
	v_and_b32_e32 v5, 1, v5                                    // 000000003754: 260A0A81
	v_mul_i32_i24_e32 v5, 32, v5                               // 000000003758: 0C0A0AA0
	v_add_u32_e32 v4, v4, v5                                   // 00000000375C: 68080B04
	v_and_b32_e32 v5, 15, v0                                   // 000000003760: 260A008F
	v_mul_lo_u32 v194, s36, v5                                 // 000000003764: D28500C2 00020A24
	v_add_u32_e32 v194, s62, v194                              // 00000000376C: 6985843E
	v_add_u32_e32 v194, v4, v194                               // 000000003770: 69858504
	s_cmp_lt_i32 s46, 2                                        // 000000003774: BF04822E
	s_cbranch_scc0 label_07FA                                  // 000000003778: BF84051B

000000000000377c <label_02DF>:
	s_waitcnt vmcnt(26) lgkmcnt(5)                             // 00000000377C: BF8C457A
	s_barrier                                                  // 000000003780: BF8A0000
	v_mfma_scale_f32_16x16x128_f8f6f4 a[0:3], v[104:107], v[8:11], a[0:3], v174, v168 op_sel_hi:[0,0,0] cbsz:4 blgp:4// 000000003784: D3AC6000 000351AE D3AD8C00 84021168
	ds_read_b128 v[40:43], v184 offset:8448                    // 000000003794: D9FE2100 280000B8
	v_mfma_scale_f32_16x16x128_f8f6f4 a[4:7], v[104:107], v[12:15], a[4:7], v174, v168 op_sel_hi:[0,0,0] cbsz:4 blgp:4// 00000000379C: D3AC7000 000351AE D3AD8C04 84121968
	s_add_u32 m0, 0x1800, s65                                  // 0000000037AC: 807C41FF 00001800
	buffer_load_dword v188, s[20:23], 0 offen lds              // 0000000037B4: E0511000 800500BC
	v_mfma_scale_f32_16x16x128_f8f6f4 a[8:11], v[108:111], v[8:11], a[8:11], v174, v168 op_sel_hi:[0,0,0] cbsz:4 blgp:4// 0000000037BC: D3AC0800 000351AE D3AD8C08 8422116C
	ds_read_b128 v[48:51], v184 offset:8512                    // 0000000037CC: D9FE2140 300000B8
	v_mfma_scale_f32_16x16x128_f8f6f4 a[12:15], v[108:111], v[12:15], a[12:15], v174, v168 op_sel_hi:[0,0,0] cbsz:4 blgp:4// 0000000037D4: D3AC7800 000351AE D3AD8C0C 8432196C
	s_add_u32 m0, 0x1c00, s65                                  // 0000000037E4: 807C41FF 00001C00
	buffer_load_dword v189, s[20:23], 0 offen lds              // 0000000037EC: E0511000 800500BD
	v_mfma_scale_f32_16x16x128_f8f6f4 a[0:3], v[112:115], v[16:19], a[0:3], v174, v168 op_sel_hi:[0,0,0] cbsz:4 blgp:4// 0000000037F4: D3AC6000 180351AE D3AD8C00 84022170
	ds_read_b128 v[44:47], v184 offset:8960                    // 000000003804: D9FE2300 2C0000B8
	v_mfma_scale_f32_16x16x128_f8f6f4 a[4:7], v[112:115], v[20:23], a[4:7], v174, v168 op_sel_hi:[0,0,0] cbsz:4 blgp:4// 00000000380C: D3AC7000 180351AE D3AD8C04 84122970
	s_add_u32 m0, 0x12900, s64                                 // 00000000381C: 807C40FF 00012900
	buffer_load_dwordx4 v178, s[12:15], 0 offen lds            // 000000003824: E05D1000 800300B2
	v_mfma_scale_f32_16x16x128_f8f6f4 a[8:11], v[116:119], v[16:19], a[8:11], v174, v168 op_sel_hi:[0,0,0] cbsz:4 blgp:4// 00000000382C: D3AC6800 180351AE D3AD8C08 84222174
	ds_read_b128 v[52:55], v184 offset:9024                    // 00000000383C: D9FE2340 340000B8
	v_mfma_scale_f32_16x16x128_f8f6f4 a[12:15], v[116:119], v[20:23], a[12:15], v174, v168 op_sel_hi:[0,0,0] cbsz:4 blgp:4// 000000003844: D3AC7800 180351AE D3AD8C0C 84322974
	s_add_u32 m0, 0x13980, s64                                 // 000000003854: 807C40FF 00013980
	buffer_load_dwordx4 v179, s[12:15], 0 offen lds            // 00000000385C: E05D1000 800300B3
	ds_read_b32 v170, v190 offset:512                          // 000000003864: D86C0200 AA0000BE
	s_waitcnt lgkmcnt(5)                                       // 00000000386C: BF8CC57F
	v_mfma_scale_f32_16x16x128_f8f6f4 a[16:19], v[104:107], v[24:27], a[16:19], v174, v169 op_sel_hi:[0,0,0] cbsz:4 blgp:4// 000000003870: D3AC6000 000353AE D3AD8C10 84423168
	ds_read_b128 v[56:59], v184 offset:12672                   // 000000003880: D9FE3180 380000B8
	v_mfma_scale_f32_16x16x128_f8f6f4 a[20:23], v[104:107], v[28:31], a[20:23], v174, v169 op_sel_hi:[0,0,0] cbsz:4 blgp:4// 000000003888: D3AC7000 000353AE D3AD8C14 84523968
	s_add_u32 m0, 0x14a00, s64                                 // 000000003898: 807C40FF 00014A00
	buffer_load_dwordx4 v180, s[12:15], 0 offen lds            // 0000000038A0: E05D1000 800300B4
	v_mfma_scale_f32_16x16x128_f8f6f4 a[24:27], v[108:111], v[24:27], a[24:27], v174, v169 op_sel_hi:[0,0,0] cbsz:4 blgp:4// 0000000038A8: D3AC6800 000353AE D3AD8C18 8462316C
	ds_read_b128 v[64:67], v184 offset:12736                   // 0000000038B8: D9FE31C0 400000B8
	v_mfma_scale_f32_16x16x128_f8f6f4 a[28:31], v[108:111], v[28:31], a[28:31], v174, v169 op_sel_hi:[0,0,0] cbsz:4 blgp:4// 0000000038C0: D3AC7800 000353AE D3AD8C1C 8472396C
	s_add_u32 m0, 0x15a80, s64                                 // 0000000038D0: 807C40FF 00015A80
	buffer_load_dwordx4 v181, s[12:15], 0 offen lds            // 0000000038D8: E05D1000 800300B5
	v_mfma_scale_f32_16x16x128_f8f6f4 a[16:19], v[112:115], v[32:35], a[16:19], v174, v169 op_sel_hi:[0,0,0] cbsz:4 blgp:4// 0000000038E0: D3AC6000 180353AE D3AD8C10 84424170
	ds_read_b128 v[60:63], v184 offset:13184                   // 0000000038F0: D9FE3380 3C0000B8
	v_mfma_scale_f32_16x16x128_f8f6f4 a[20:23], v[112:115], v[36:39], a[20:23], v174, v169 op_sel_hi:[0,0,0] cbsz:4 blgp:4// 0000000038F8: D3AC7000 180353AE D3AD8C14 84524970
	s_add_u32 m0, 0x16b00, s64                                 // 000000003908: 807C40FF 00016B00
	buffer_load_dwordx4 v182, s[12:15], 0 offen lds            // 000000003910: E05D1000 800300B6
	v_mfma_scale_f32_16x16x128_f8f6f4 a[24:27], v[116:119], v[32:35], a[24:27], v174, v169 op_sel_hi:[0,0,0] cbsz:4 blgp:4// 000000003918: D3AC6800 180353AE D3AD8C18 84624174
	ds_read_b128 v[68:71], v184 offset:13248                   // 000000003928: D9FE33C0 440000B8
	v_mfma_scale_f32_16x16x128_f8f6f4 a[28:31], v[116:119], v[36:39], a[28:31], v174, v169 op_sel_hi:[0,0,0] cbsz:4 blgp:4// 000000003930: D3AC7800 180353AE D3AD8C1C 84724974
	s_add_u32 m0, 0x17b80, s64                                 // 000000003940: 807C40FF 00017B80
	buffer_load_dwordx4 v183, s[12:15], 0 offen lds            // 000000003948: E05D1000 800300B7
	ds_read_b32 v171, v190 offset:768                          // 000000003950: D86C0300 AB0000BE
	s_waitcnt lgkmcnt(5)                                       // 000000003958: BF8CC57F
	v_mfma_scale_f32_16x16x128_f8f6f4 a[32:35], v[104:107], v[40:43], a[32:35], v174, v170 op_sel_hi:[0,0,0] cbsz:4 blgp:4// 00000000395C: D3AC6000 000355AE D3AD8C20 84825168
	s_add_u32 s62, 0x400, s60                                  // 00000000396C: 803E3CFF 00000400
	ds_read_b128 v[72:75], v184 offset:16896                   // 000000003974: D9FE4200 480000B8
	v_mfma_scale_f32_16x16x128_f8f6f4 a[36:39], v[104:107], v[44:47], a[36:39], v174, v170 op_sel_hi:[0,0,0] cbsz:4 blgp:4// 00000000397C: D3AC7000 000355AE D3AD8C24 84925968
	s_cmp_lt_u32 s62, s61                                      // 00000000398C: BF0A3D3E
	buffer_load_dwordx4 v[152:155], v191, s[16:19], 0 offen    // 000000003990: E05C1000 800498BF
	v_mfma_scale_f32_16x16x128_f8f6f4 a[40:43], v[108:111], v[40:43], a[40:43], v174, v170 op_sel_hi:[0,0,0] cbsz:4 blgp:4// 000000003998: D3AC6800 000355AE D3AD8C28 84A2516C
	s_cselect_b32 s66, s66, 0                                  // 0000000039A8: 85428042
	ds_read_b128 v[80:83], v184 offset:16960                   // 0000000039AC: D9FE4240 500000B8
	v_mfma_scale_f32_16x16x128_f8f6f4 a[44:47], v[108:111], v[44:47], a[44:47], v174, v170 op_sel_hi:[0,0,0] cbsz:4 blgp:4// 0000000039B4: D3AC7800 000355AE D3AD8C2C 84B2596C
	s_cselect_b32 s68, s68, 0                                  // 0000000039C4: 85448044
	s_add_u32 s12, s12, s66                                    // 0000000039C8: 800C420C
	v_mfma_scale_f32_16x16x128_f8f6f4 a[32:35], v[112:115], v[48:51], a[32:35], v174, v170 op_sel_hi:[0,0,0] cbsz:4 blgp:4// 0000000039CC: D3AC6000 180355AE D3AD8C20 84826170
	s_addc_u32 s13, 0, s13                                     // 0000000039DC: 820D0D80
	ds_read_b128 v[76:79], v184 offset:17408                   // 0000000039E0: D9FE4400 4C0000B8
	v_mfma_scale_f32_16x16x128_f8f6f4 a[36:39], v[112:115], v[52:55], a[36:39], v174, v170 op_sel_hi:[0,0,0] cbsz:4 blgp:4// 0000000039E8: D3AC7000 180355AE D3AD8C24 84926970
	s_sub_u32 s14, s14, s66                                    // 0000000039F8: 808E420E
	buffer_load_dwordx4 v[156:159], v192, s[16:19], 0 offen    // 0000000039FC: E05C1000 80049CC0
	v_mfma_scale_f32_16x16x128_f8f6f4 a[40:43], v[116:119], v[48:51], a[40:43], v174, v170 op_sel_hi:[0,0,0] cbsz:4 blgp:4// 000000003A04: D3AC6800 180355AE D3AD8C28 84A26174
	s_add_u32 s20, s20, s68                                    // 000000003A14: 80144414
	ds_read_b128 v[84:87], v184 offset:17472                   // 000000003A18: D9FE4440 540000B8
	v_mfma_scale_f32_16x16x128_f8f6f4 a[44:47], v[116:119], v[52:55], a[44:47], v174, v170 op_sel_hi:[0,0,0] cbsz:4 blgp:4// 000000003A20: D3AC7800 180355AE D3AD8C2C 84B26974
	s_addc_u32 s21, 0, s21                                     // 000000003A30: 82151580
	s_sub_u32 s22, s22, s68                                    // 000000003A34: 80964416
	ds_read_b32 v172, v190 offset:1024                         // 000000003A38: D86C0400 AC0000BE
	s_waitcnt lgkmcnt(5)                                       // 000000003A40: BF8CC57F
	v_mfma_scale_f32_16x16x128_f8f6f4 a[48:51], v[104:107], v[56:59], a[48:51], v174, v171 op_sel_hi:[0,0,0] cbsz:4 blgp:4// 000000003A44: D3AC6000 000357AE D3AD8C30 84C27168
	s_add_u32 s63, 0x400, s60                                  // 000000003A54: 803F3CFF 00000400
	ds_read_b128 v[88:91], v184 offset:21120                   // 000000003A5C: D9FE5280 580000B8
	v_mfma_scale_f32_16x16x128_f8f6f4 a[52:55], v[104:107], v[60:63], a[52:55], v174, v171 op_sel_hi:[0,0,0] cbsz:4 blgp:4// 000000003A64: D3AC7000 000357AE D3AD8C34 84D27968
	s_cmp_lt_u32 s63, s61                                      // 000000003A74: BF0A3D3F
	buffer_load_dwordx4 v[160:163], v191, s[16:19], 0 offen offset:1024// 000000003A78: E05C1400 8004A0BF
	v_mfma_scale_f32_16x16x128_f8f6f4 a[56:59], v[108:111], v[56:59], a[56:59], v174, v171 op_sel_hi:[0,0,0] cbsz:4 blgp:4// 000000003A80: D3AC6800 000357AE D3AD8C38 84E2716C
	s_cselect_b32 s67, s67, 0                                  // 000000003A90: 85438043
	ds_read_b128 v[96:99], v184 offset:21184                   // 000000003A94: D9FE52C0 600000B8
	v_mfma_scale_f32_16x16x128_f8f6f4 a[60:63], v[108:111], v[60:63], a[60:63], v174, v171 op_sel_hi:[0,0,0] cbsz:4 blgp:4// 000000003A9C: D3AC7800 000357AE D3AD8C3C 84F2796C
	s_cselect_b32 s69, s69, 0                                  // 000000003AAC: 85458045
	v_mfma_scale_f32_16x16x128_f8f6f4 a[48:51], v[112:115], v[64:67], a[48:51], v174, v171 op_sel_hi:[0,0,0] cbsz:4 blgp:4// 000000003AB0: D3AC6000 180357AE D3AD8C30 84C28170
	ds_read_b128 v[92:95], v184 offset:21632                   // 000000003AC0: D9FE5480 5C0000B8
	v_mfma_scale_f32_16x16x128_f8f6f4 a[52:55], v[112:115], v[68:71], a[52:55], v174, v171 op_sel_hi:[0,0,0] cbsz:4 blgp:4// 000000003AC8: D3AC7000 180357AE D3AD8C34 84D28970
	buffer_load_dwordx4 v[164:167], v192, s[16:19], 0 offen offset:1024// 000000003AD8: E05C1400 8004A4C0
	v_mfma_scale_f32_16x16x128_f8f6f4 a[56:59], v[116:119], v[64:67], a[56:59], v174, v171 op_sel_hi:[0,0,0] cbsz:4 blgp:4// 000000003AE0: D3AC6800 180357AE D3AD8C38 84E28174
	ds_read_b128 v[100:103], v184 offset:21696                 // 000000003AF0: D9FE54C0 640000B8
	v_mfma_scale_f32_16x16x128_f8f6f4 a[60:63], v[116:119], v[68:71], a[60:63], v174, v171 op_sel_hi:[0,0,0] cbsz:4 blgp:4// 000000003AF8: D3AC7800 180357AE D3AD8C3C 84F28974
	ds_read_b32 v173, v190 offset:1280                         // 000000003B08: D86C0500 AD0000BE
	s_waitcnt vmcnt(34) lgkmcnt(5)                             // 000000003B10: BF8C8572
	s_barrier                                                  // 000000003B14: BF8A0000
	v_mfma_scale_f32_16x16x128_f8f6f4 a[64:67], v[104:107], v[72:75], a[64:67], v174, v172 op_sel_hi:[0,0,0] cbsz:4 blgp:4// 000000003B18: D3AC6000 000359AE D3AD8C40 85029168
	ds_read_b128 v[8:11], v185                                 // 000000003B28: D9FE0000 080000B9
	v_mfma_scale_f32_16x16x128_f8f6f4 a[68:71], v[104:107], v[76:79], a[68:71], v174, v172 op_sel_hi:[0,0,0] cbsz:4 blgp:4// 000000003B30: D3AC7000 000359AE D3AD8C44 85129968
	buffer_load_dword v177, v193, s[24:27], 0 offen            // 000000003B40: E0501000 8006B1C1
	v_mfma_scale_f32_16x16x128_f8f6f4 a[72:75], v[108:111], v[72:75], a[72:75], v174, v172 op_sel_hi:[0,0,0] cbsz:4 blgp:4// 000000003B48: D3AC6800 000359AE D3AD8C48 8522916C
	s_add_u32 s16, s16, s67                                    // 000000003B58: 80104310
	ds_read_b128 v[16:19], v185 offset:64                      // 000000003B5C: D9FE0040 100000B9
	v_mfma_scale_f32_16x16x128_f8f6f4 a[76:79], v[108:111], v[76:79], a[76:79], v174, v172 op_sel_hi:[0,0,0] cbsz:4 blgp:4// 000000003B64: D3AC7800 000359AE D3AD8C4C 8532996C
	s_addc_u32 s17, 0, s17                                     // 000000003B74: 82111180
	s_sub_u32 s18, s18, s67                                    // 000000003B78: 80924312
	v_mfma_scale_f32_16x16x128_f8f6f4 a[64:67], v[112:115], v[80:83], a[64:67], v174, v172 op_sel_hi:[0,0,0] cbsz:4 blgp:4// 000000003B7C: D3AC6000 180359AE D3AD8C40 8502A170
	s_add_u32 s24, s24, s69                                    // 000000003B8C: 80184518
	ds_read_b128 v[12:15], v185 offset:512                     // 000000003B90: D9FE0200 0C0000B9
	v_mfma_scale_f32_16x16x128_f8f6f4 a[68:71], v[112:115], v[84:87], a[68:71], v174, v172 op_sel_hi:[0,0,0] cbsz:4 blgp:4// 000000003B98: D3AC7000 180359AE D3AD8C44 8512A970
	s_addc_u32 s25, 0, s25                                     // 000000003BA8: 82191980
	s_sub_u32 s26, s26, s69                                    // 000000003BAC: 809A451A
	v_mfma_scale_f32_16x16x128_f8f6f4 a[72:75], v[116:119], v[80:83], a[72:75], v174, v172 op_sel_hi:[0,0,0] cbsz:4 blgp:4// 000000003BB0: D3AC6800 180359AE D3AD8C48 8522A174
	s_addk_i32 s60, 0x100                                      // 000000003BC0: B73C0100
	ds_read_b128 v[20:23], v185 offset:576                     // 000000003BC4: D9FE0240 140000B9
	v_mfma_scale_f32_16x16x128_f8f6f4 a[76:79], v[116:119], v[84:87], a[76:79], v174, v172 op_sel_hi:[0,0,0] cbsz:4 blgp:4// 000000003BCC: D3AC7800 180359AE D3AD8C4C 8532A974
	s_cmp_lt_i32 s60, s61                                      // 000000003BDC: BF043D3C
	ds_read_b32 v168, v190 offset:2048                         // 000000003BE0: D86C0800 A80000BE
	s_waitcnt lgkmcnt(5)                                       // 000000003BE8: BF8CC57F
	v_mfma_scale_f32_16x16x128_f8f6f4 a[80:83], v[104:107], v[88:91], a[80:83], v174, v173 op_sel_hi:[0,0,0] cbsz:4 blgp:4// 000000003BEC: D3AC6000 00035BAE D3AD8C50 8542B168
	ds_read_b128 v[24:27], v185 offset:4224                    // 000000003BFC: D9FE1080 180000B9
	v_mfma_scale_f32_16x16x128_f8f6f4 a[84:87], v[104:107], v[92:95], a[84:87], v174, v173 op_sel_hi:[0,0,0] cbsz:4 blgp:4// 000000003C04: D3AC7000 00035BAE D3AD8C54 8552B968
	v_mfma_scale_f32_16x16x128_f8f6f4 a[88:91], v[108:111], v[88:91], a[88:91], v174, v173 op_sel_hi:[0,0,0] cbsz:4 blgp:4// 000000003C14: D3AC6800 00035BAE D3AD8C58 8562B16C
	ds_read_b128 v[32:35], v185 offset:4288                    // 000000003C24: D9FE10C0 200000B9
	v_mfma_scale_f32_16x16x128_f8f6f4 a[92:95], v[108:111], v[92:95], a[92:95], v174, v173 op_sel_hi:[0,0,0] cbsz:4 blgp:4// 000000003C2C: D3AC7800 00035BAE D3AD8C5C 8572B96C
	v_mfma_scale_f32_16x16x128_f8f6f4 a[80:83], v[112:115], v[96:99], a[80:83], v174, v173 op_sel_hi:[0,0,0] cbsz:4 blgp:4// 000000003C3C: D3AC6000 18035BAE D3AD8C50 8542C170
	ds_read_b128 v[28:31], v185 offset:4736                    // 000000003C4C: D9FE1280 1C0000B9
	v_mfma_scale_f32_16x16x128_f8f6f4 a[84:87], v[112:115], v[100:103], a[84:87], v174, v173 op_sel_hi:[0,0,0] cbsz:4 blgp:4// 000000003C54: D3AC7000 18035BAE D3AD8C54 8552C970
	v_mfma_scale_f32_16x16x128_f8f6f4 a[88:91], v[116:119], v[96:99], a[88:91], v174, v173 op_sel_hi:[0,0,0] cbsz:4 blgp:4// 000000003C64: D3AC6800 18035BAE D3AD8C58 8562C174
	ds_read_b128 v[36:39], v185 offset:4800                    // 000000003C74: D9FE12C0 240000B9
	v_mfma_scale_f32_16x16x128_f8f6f4 a[92:95], v[116:119], v[100:103], a[92:95], v174, v173 op_sel_hi:[0,0,0] cbsz:4 blgp:4// 000000003C7C: D3AC7800 18035BAE D3AD8C5C 8572C974
	ds_read_b32 v169, v190 offset:2304                         // 000000003C8C: D86C0900 A90000BE
	s_cbranch_scc0 label_0D15                                  // 000000003C94: BF8408EF
	s_waitcnt vmcnt(26) lgkmcnt(5)                             // 000000003C98: BF8C457A
	s_barrier                                                  // 000000003C9C: BF8A0000
	v_mfma_scale_f32_16x16x128_f8f6f4 a[0:3], v[120:123], v[8:11], a[0:3], v175, v168 op_sel_hi:[0,0,0] cbsz:4 blgp:4// 000000003CA0: D3AC6000 000351AF D3AD8C00 84021178
	ds_read_b128 v[40:43], v185 offset:8448                    // 000000003CB0: D9FE2100 280000B9
	v_mfma_scale_f32_16x16x128_f8f6f4 a[4:7], v[120:123], v[12:15], a[4:7], v175, v168 op_sel_hi:[0,0,0] cbsz:4 blgp:4// 000000003CB8: D3AC7000 000351AF D3AD8C04 84121978
	s_add_u32 m0, 0, s65                                       // 000000003CC8: 807C4180
	buffer_load_dword v188, s[20:23], 0 offen lds              // 000000003CCC: E0511000 800500BC
	v_mfma_scale_f32_16x16x128_f8f6f4 a[8:11], v[124:127], v[8:11], a[8:11], v175, v168 op_sel_hi:[0,0,0] cbsz:4 blgp:4// 000000003CD4: D3AC6800 000351AF D3AD8C08 8422117C
	ds_read_b128 v[48:51], v185 offset:8512                    // 000000003CE4: D9FE2140 300000B9
	v_mfma_scale_f32_16x16x128_f8f6f4 a[12:15], v[124:127], v[12:15], a[12:15], v175, v168 op_sel_hi:[0,0,0] cbsz:4 blgp:4// 000000003CEC: D3AC7800 000351AF D3AD8C0C 8432197C
	s_add_u32 m0, 0x400, s65                                   // 000000003CFC: 807C41FF 00000400
	buffer_load_dword v189, s[20:23], 0 offen lds              // 000000003D04: E0511000 800500BD
	v_mfma_scale_f32_16x16x128_f8f6f4 a[0:3], v[128:131], v[16:19], a[0:3], v175, v168 op_sel_hi:[0,0,0] cbsz:4 blgp:4// 000000003D0C: D3AC4000 180351AF D3AD8C00 84022180
	ds_read_b128 v[44:47], v185 offset:8960                    // 000000003D1C: D9FE2300 2C0000B9
	v_mfma_scale_f32_16x16x128_f8f6f4 a[4:7], v[128:131], v[20:23], a[4:7], v175, v168 op_sel_hi:[0,0,0] cbsz:4 blgp:4// 000000003D24: D3AC7000 180351AF D3AD8C04 84122980
	s_add_u32 m0, 0, s64                                       // 000000003D34: 807C4080
	buffer_load_dwordx4 v178, s[12:15], 0 offen lds            // 000000003D38: E05D1000 800300B2
	v_mfma_scale_f32_16x16x128_f8f6f4 a[8:11], v[132:135], v[16:19], a[8:11], v175, v168 op_sel_hi:[0,0,0] cbsz:4 blgp:4// 000000003D40: D3AC4800 180351AF D3AD8C08 84222184
	ds_read_b128 v[52:55], v185 offset:9024                    // 000000003D50: D9FE2340 340000B9
	v_mfma_scale_f32_16x16x128_f8f6f4 a[12:15], v[132:135], v[20:23], a[12:15], v175, v168 op_sel_hi:[0,0,0] cbsz:4 blgp:4// 000000003D58: D3AC7800 180351AF D3AD8C0C 84322984
	s_add_u32 m0, 0x1080, s64                                  // 000000003D68: 807C40FF 00001080
	buffer_load_dwordx4 v179, s[12:15], 0 offen lds            // 000000003D70: E05D1000 800300B3
	ds_read_b32 v170, v190 offset:2560                         // 000000003D78: D86C0A00 AA0000BE
	s_waitcnt lgkmcnt(5)                                       // 000000003D80: BF8CC57F
	v_mfma_scale_f32_16x16x128_f8f6f4 a[16:19], v[120:123], v[24:27], a[16:19], v175, v169 op_sel_hi:[0,0,0] cbsz:4 blgp:4// 000000003D84: D3AC6000 000353AF D3AD8C10 84423178
	ds_read_b128 v[56:59], v185 offset:12672                   // 000000003D94: D9FE3180 380000B9
	v_mfma_scale_f32_16x16x128_f8f6f4 a[20:23], v[120:123], v[28:31], a[20:23], v175, v169 op_sel_hi:[0,0,0] cbsz:4 blgp:4// 000000003D9C: D3AC7000 000353AF D3AD8C14 84523978
	s_add_u32 m0, 0x2100, s64                                  // 000000003DAC: 807C40FF 00002100
	buffer_load_dwordx4 v180, s[12:15], 0 offen lds            // 000000003DB4: E05D1000 800300B4
	v_mfma_scale_f32_16x16x128_f8f6f4 a[24:27], v[124:127], v[24:27], a[24:27], v175, v169 op_sel_hi:[0,0,0] cbsz:4 blgp:4// 000000003DBC: D3AC4800 000353AF D3AD8C18 8462317C
	ds_read_b128 v[64:67], v185 offset:12736                   // 000000003DCC: D9FE31C0 400000B9
	v_mfma_scale_f32_16x16x128_f8f6f4 a[28:31], v[124:127], v[28:31], a[28:31], v175, v169 op_sel_hi:[0,0,0] cbsz:4 blgp:4// 000000003DD4: D3AC7800 000353AF D3AD8C1C 8472397C
	s_add_u32 m0, 0x3180, s64                                  // 000000003DE4: 807C40FF 00003180
	buffer_load_dwordx4 v181, s[12:15], 0 offen lds            // 000000003DEC: E05D1000 800300B5
	v_mfma_scale_f32_16x16x128_f8f6f4 a[16:19], v[128:131], v[32:35], a[16:19], v175, v169 op_sel_hi:[0,0,0] cbsz:4 blgp:4// 000000003DF4: D3AC4000 180353AF D3AD8C10 84424180
	ds_read_b128 v[60:63], v185 offset:13184                   // 000000003E04: D9FE3380 3C0000B9
	v_mfma_scale_f32_16x16x128_f8f6f4 a[20:23], v[128:131], v[36:39], a[20:23], v175, v169 op_sel_hi:[0,0,0] cbsz:4 blgp:4// 000000003E0C: D3AC7000 180353AF D3AD8C14 84524980
	s_add_u32 m0, 0x4200, s64                                  // 000000003E1C: 807C40FF 00004200
	buffer_load_dwordx4 v182, s[12:15], 0 offen lds            // 000000003E24: E05D1000 800300B6
	v_mfma_scale_f32_16x16x128_f8f6f4 a[24:27], v[132:135], v[32:35], a[24:27], v175, v169 op_sel_hi:[0,0,0] cbsz:4 blgp:4// 000000003E2C: D3AC4800 180353AF D3AD8C18 84624184
	ds_read_b128 v[68:71], v185 offset:13248                   // 000000003E3C: D9FE33C0 440000B9
	v_mfma_scale_f32_16x16x128_f8f6f4 a[28:31], v[132:135], v[36:39], a[28:31], v175, v169 op_sel_hi:[0,0,0] cbsz:4 blgp:4// 000000003E44: D3AC7800 180353AF D3AD8C1C 84724984
	s_add_u32 m0, 0x5280, s64                                  // 000000003E54: 807C40FF 00005280
	buffer_load_dwordx4 v183, s[12:15], 0 offen lds            // 000000003E5C: E05D1000 800300B7
	ds_read_b32 v171, v190 offset:2816                         // 000000003E64: D86C0B00 AB0000BE
	s_waitcnt lgkmcnt(5)                                       // 000000003E6C: BF8CC57F
	v_mfma_scale_f32_16x16x128_f8f6f4 a[32:35], v[120:123], v[40:43], a[32:35], v175, v170 op_sel_hi:[0,0,0] cbsz:4 blgp:4// 000000003E70: D3AC6000 000355AF D3AD8C20 84825178
	s_add_u32 s62, 0x400, s60                                  // 000000003E80: 803E3CFF 00000400
	ds_read_b128 v[72:75], v185 offset:16896                   // 000000003E88: D9FE4200 480000B9
	v_mfma_scale_f32_16x16x128_f8f6f4 a[36:39], v[120:123], v[44:47], a[36:39], v175, v170 op_sel_hi:[0,0,0] cbsz:4 blgp:4// 000000003E90: D3AC7000 000355AF D3AD8C24 84925978
	s_cmp_lt_u32 s62, s61                                      // 000000003EA0: BF0A3D3E
	buffer_load_dwordx4 v[104:107], v191, s[16:19], 0 offen    // 000000003EA4: E05C1000 800468BF
	v_mfma_scale_f32_16x16x128_f8f6f4 a[40:43], v[124:127], v[40:43], a[40:43], v175, v170 op_sel_hi:[0,0,0] cbsz:4 blgp:4// 000000003EAC: D3AC4800 000355AF D3AD8C28 84A2517C
	s_cselect_b32 s66, s66, 0                                  // 000000003EBC: 85428042
	ds_read_b128 v[80:83], v185 offset:16960                   // 000000003EC0: D9FE4240 500000B9
	v_mfma_scale_f32_16x16x128_f8f6f4 a[44:47], v[124:127], v[44:47], a[44:47], v175, v170 op_sel_hi:[0,0,0] cbsz:4 blgp:4// 000000003EC8: D3AC7800 000355AF D3AD8C2C 84B2597C
	s_cselect_b32 s68, s68, 0                                  // 000000003ED8: 85448044
	s_add_u32 s12, s12, s66                                    // 000000003EDC: 800C420C
	v_mfma_scale_f32_16x16x128_f8f6f4 a[32:35], v[128:131], v[48:51], a[32:35], v175, v170 op_sel_hi:[0,0,0] cbsz:4 blgp:4// 000000003EE0: D3AC6000 180355AF D3AD8C20 84826180
	s_addc_u32 s13, 0, s13                                     // 000000003EF0: 820D0D80
	ds_read_b128 v[76:79], v185 offset:17408                   // 000000003EF4: D9FE4400 4C0000B9
	v_mfma_scale_f32_16x16x128_f8f6f4 a[36:39], v[128:131], v[52:55], a[36:39], v175, v170 op_sel_hi:[0,0,0] cbsz:4 blgp:4// 000000003EFC: D3AC7000 180355AF D3AD8C24 84926980
	s_sub_u32 s14, s14, s66                                    // 000000003F0C: 808E420E
	buffer_load_dwordx4 v[108:111], v192, s[16:19], 0 offen    // 000000003F10: E05C1000 80046CC0
	v_mfma_scale_f32_16x16x128_f8f6f4 a[40:43], v[132:135], v[48:51], a[40:43], v175, v170 op_sel_hi:[0,0,0] cbsz:4 blgp:4// 000000003F18: D3AC6800 180355AF D3AD8C28 84A26184
	s_add_u32 s20, s20, s68                                    // 000000003F28: 80144414
	ds_read_b128 v[84:87], v185 offset:17472                   // 000000003F2C: D9FE4440 540000B9
	v_mfma_scale_f32_16x16x128_f8f6f4 a[44:47], v[132:135], v[52:55], a[44:47], v175, v170 op_sel_hi:[0,0,0] cbsz:4 blgp:4// 000000003F34: D3AC3800 180355AF D3AD8C2C 84B26984
	s_addc_u32 s21, 0, s21                                     // 000000003F44: 82151580
	s_sub_u32 s22, s22, s68                                    // 000000003F48: 80964416
	ds_read_b32 v172, v190 offset:3072                         // 000000003F4C: D86C0C00 AC0000BE
	s_waitcnt lgkmcnt(5)                                       // 000000003F54: BF8CC57F
	v_mfma_scale_f32_16x16x128_f8f6f4 a[48:51], v[120:123], v[56:59], a[48:51], v175, v171 op_sel_hi:[0,0,0] cbsz:4 blgp:4// 000000003F58: D3AC6000 000357AF D3AD8C30 84C27178
	s_add_u32 s63, 0x400, s60                                  // 000000003F68: 803F3CFF 00000400
	ds_read_b128 v[88:91], v185 offset:21120                   // 000000003F70: D9FE5280 580000B9
	v_mfma_scale_f32_16x16x128_f8f6f4 a[52:55], v[120:123], v[60:63], a[52:55], v175, v171 op_sel_hi:[0,0,0] cbsz:4 blgp:4// 000000003F78: D3AC7000 000357AF D3AD8C34 84D27978
	s_cmp_lt_u32 s63, s61                                      // 000000003F88: BF0A3D3F
	buffer_load_dwordx4 v[112:115], v191, s[16:19], 0 offen offset:1024// 000000003F8C: E05C1400 800470BF
	v_mfma_scale_f32_16x16x128_f8f6f4 a[56:59], v[124:127], v[56:59], a[56:59], v175, v171 op_sel_hi:[0,0,0] cbsz:4 blgp:4// 000000003F94: D3AC6800 000357AF D3AD8C38 84E2717C
	s_cselect_b32 s67, s67, 0                                  // 000000003FA4: 85438043
	ds_read_b128 v[96:99], v185 offset:21184                   // 000000003FA8: D9FE52C0 600000B9
	v_mfma_scale_f32_16x16x128_f8f6f4 a[60:63], v[124:127], v[60:63], a[60:63], v175, v171 op_sel_hi:[0,0,0] cbsz:4 blgp:4// 000000003FB0: D3AC7800 000357AF D3AD8C3C 84F2797C
	s_cselect_b32 s69, s69, 0                                  // 000000003FC0: 85458045
	v_mfma_scale_f32_16x16x128_f8f6f4 a[48:51], v[128:131], v[64:67], a[48:51], v175, v171 op_sel_hi:[0,0,0] cbsz:4 blgp:4// 000000003FC4: D3AC6000 180357AF D3AD8C30 84C28180
	ds_read_b128 v[92:95], v185 offset:21632                   // 000000003FD4: D9FE5480 5C0000B9
	v_mfma_scale_f32_16x16x128_f8f6f4 a[52:55], v[128:131], v[68:71], a[52:55], v175, v171 op_sel_hi:[0,0,0] cbsz:4 blgp:4// 000000003FDC: D3AC7000 180357AF D3AD8C34 84D28980
	buffer_load_dwordx4 v[116:119], v192, s[16:19], 0 offen offset:1024// 000000003FEC: E05C1400 800474C0
	v_mfma_scale_f32_16x16x128_f8f6f4 a[56:59], v[132:135], v[64:67], a[56:59], v175, v171 op_sel_hi:[0,0,0] cbsz:4 blgp:4// 000000003FF4: D3AC6800 180357AF D3AD8C38 84E28184
	ds_read_b128 v[100:103], v185 offset:21696                 // 000000004004: D9FE54C0 640000B9
	v_mfma_scale_f32_16x16x128_f8f6f4 a[60:63], v[132:135], v[68:71], a[60:63], v175, v171 op_sel_hi:[0,0,0] cbsz:4 blgp:4// 00000000400C: D3AC7800 180357AF D3AD8C3C 84F28984
	ds_read_b32 v173, v190 offset:3328                         // 00000000401C: D86C0D00 AD0000BE
	s_waitcnt vmcnt(34) lgkmcnt(5)                             // 000000004024: BF8C8572
	s_barrier                                                  // 000000004028: BF8A0000
	v_mfma_scale_f32_16x16x128_f8f6f4 a[64:67], v[120:123], v[72:75], a[64:67], v175, v172 op_sel_hi:[0,0,0] cbsz:4 blgp:4// 00000000402C: D3AC6000 000359AF D3AD8C40 85029178
	ds_read_b128 v[8:11], v186                                 // 00000000403C: D9FE0000 080000BA
	v_mfma_scale_f32_16x16x128_f8f6f4 a[68:71], v[120:123], v[76:79], a[68:71], v175, v172 op_sel_hi:[0,0,0] cbsz:4 blgp:4// 000000004044: D3AC7000 000359AF D3AD8C44 85129978
	buffer_load_dword v174, v193, s[24:27], 0 offen            // 000000004054: E0501000 8006AEC1
	v_mfma_scale_f32_16x16x128_f8f6f4 a[72:75], v[124:127], v[72:75], a[72:75], v175, v172 op_sel_hi:[0,0,0] cbsz:4 blgp:4// 00000000405C: D3AC6800 000359AF D3AD8C48 8522917C
	s_add_u32 s16, s16, s67                                    // 00000000406C: 80104310
	ds_read_b128 v[16:19], v186 offset:64                      // 000000004070: D9FE0040 100000BA
	v_mfma_scale_f32_16x16x128_f8f6f4 a[76:79], v[124:127], v[76:79], a[76:79], v175, v172 op_sel_hi:[0,0,0] cbsz:4 blgp:4// 000000004078: D3AC7800 000359AF D3AD8C4C 8532997C
	s_addc_u32 s17, 0, s17                                     // 000000004088: 82111180
	s_sub_u32 s18, s18, s67                                    // 00000000408C: 80924312
	v_mfma_scale_f32_16x16x128_f8f6f4 a[64:67], v[128:131], v[80:83], a[64:67], v175, v172 op_sel_hi:[0,0,0] cbsz:4 blgp:4// 000000004090: D3AC6000 180359AF D3AD8C40 8502A180
	s_add_u32 s24, s24, s69                                    // 0000000040A0: 80184518
	ds_read_b128 v[12:15], v186 offset:512                     // 0000000040A4: D9FE0200 0C0000BA
	v_mfma_scale_f32_16x16x128_f8f6f4 a[68:71], v[128:131], v[84:87], a[68:71], v175, v172 op_sel_hi:[0,0,0] cbsz:4 blgp:4// 0000000040AC: D3AC7000 180359AF D3AD8C44 8512A980
	s_addc_u32 s25, 0, s25                                     // 0000000040BC: 82191980
	s_sub_u32 s26, s26, s69                                    // 0000000040C0: 809A451A
	v_mfma_scale_f32_16x16x128_f8f6f4 a[72:75], v[132:135], v[80:83], a[72:75], v175, v172 op_sel_hi:[0,0,0] cbsz:4 blgp:4// 0000000040C4: D3AC6800 180359AF D3AD8C48 8522A184
	s_addk_i32 s60, 0x100                                      // 0000000040D4: B73C0100
	ds_read_b128 v[20:23], v186 offset:576                     // 0000000040D8: D9FE0240 140000BA
	v_mfma_scale_f32_16x16x128_f8f6f4 a[76:79], v[132:135], v[84:87], a[76:79], v175, v172 op_sel_hi:[0,0,0] cbsz:4 blgp:4// 0000000040E0: D3AC7800 180359AF D3AD8C4C 8532A984
	s_cmp_lt_i32 s60, s61                                      // 0000000040F0: BF043D3C
	ds_read_b32 v168, v190 offset:4096                         // 0000000040F4: D86C1000 A80000BE
	s_waitcnt lgkmcnt(5)                                       // 0000000040FC: BF8CC57F
	v_mfma_scale_f32_16x16x128_f8f6f4 a[80:83], v[120:123], v[88:91], a[80:83], v175, v173 op_sel_hi:[0,0,0] cbsz:4 blgp:4// 000000004100: D3AC6000 00035BAF D3AD8C50 8542B178
	ds_read_b128 v[24:27], v186 offset:4224                    // 000000004110: D9FE1080 180000BA
	v_mfma_scale_f32_16x16x128_f8f6f4 a[84:87], v[120:123], v[92:95], a[84:87], v175, v173 op_sel_hi:[0,0,0] cbsz:4 blgp:4// 000000004118: D3AC7000 00035BAF D3AD8C54 8552B978
	v_mfma_scale_f32_16x16x128_f8f6f4 a[88:91], v[124:127], v[88:91], a[88:91], v175, v173 op_sel_hi:[0,0,0] cbsz:4 blgp:4// 000000004128: D3AC6800 00035BAF D3AD8C58 8562B17C
	ds_read_b128 v[32:35], v186 offset:4288                    // 000000004138: D9FE10C0 200000BA
	v_mfma_scale_f32_16x16x128_f8f6f4 a[92:95], v[124:127], v[92:95], a[92:95], v175, v173 op_sel_hi:[0,0,0] cbsz:4 blgp:4// 000000004140: D3AC1800 00035BAF D3AD8C5C 8572B97C
	v_mfma_scale_f32_16x16x128_f8f6f4 a[80:83], v[128:131], v[96:99], a[80:83], v175, v173 op_sel_hi:[0,0,0] cbsz:4 blgp:4// 000000004150: D3AC6000 18035BAF D3AD8C50 8542C180
	ds_read_b128 v[28:31], v186 offset:4736                    // 000000004160: D9FE1280 1C0000BA
	v_mfma_scale_f32_16x16x128_f8f6f4 a[84:87], v[128:131], v[100:103], a[84:87], v175, v173 op_sel_hi:[0,0,0] cbsz:4 blgp:4// 000000004168: D3AC7000 18035BAF D3AD8C54 8552C980
	v_mfma_scale_f32_16x16x128_f8f6f4 a[88:91], v[132:135], v[96:99], a[88:91], v175, v173 op_sel_hi:[0,0,0] cbsz:4 blgp:4// 000000004178: D3AC6800 18035BAF D3AD8C58 8562C184
	ds_read_b128 v[36:39], v186 offset:4800                    // 000000004188: D9FE12C0 240000BA
	v_mfma_scale_f32_16x16x128_f8f6f4 a[92:95], v[132:135], v[100:103], a[92:95], v175, v173 op_sel_hi:[0,0,0] cbsz:4 blgp:4// 000000004190: D3AC7800 18035BAF D3AD8C5C 8572C984
	ds_read_b32 v169, v190 offset:4352                         // 0000000041A0: D86C1100 A90000BE
	s_cbranch_scc0 label_0D15                                  // 0000000041A8: BF8407AA
	s_waitcnt vmcnt(26) lgkmcnt(5)                             // 0000000041AC: BF8C457A
	s_barrier                                                  // 0000000041B0: BF8A0000
	v_mfma_scale_f32_16x16x128_f8f6f4 a[0:3], v[136:139], v[8:11], a[0:3], v176, v168 op_sel_hi:[0,0,0] cbsz:4 blgp:4// 0000000041B4: D3AC6000 000351B0 D3AD8C00 84021188
	ds_read_b128 v[40:43], v186 offset:8448                    // 0000000041C4: D9FE2100 280000BA
	v_mfma_scale_f32_16x16x128_f8f6f4 a[4:7], v[136:139], v[12:15], a[4:7], v176, v168 op_sel_hi:[0,0,0] cbsz:4 blgp:4// 0000000041CC: D3AC7000 000351B0 D3AD8C04 84121988
	s_add_u32 m0, 0x800, s65                                   // 0000000041DC: 807C41FF 00000800
	buffer_load_dword v188, s[20:23], 0 offen lds              // 0000000041E4: E0511000 800500BC
	v_mfma_scale_f32_16x16x128_f8f6f4 a[8:11], v[140:143], v[8:11], a[8:11], v176, v168 op_sel_hi:[0,0,0] cbsz:4 blgp:4// 0000000041EC: D3AC6800 000351B0 D3AD8C08 8422118C
	ds_read_b128 v[48:51], v186 offset:8512                    // 0000000041FC: D9FE2140 300000BA
	v_mfma_scale_f32_16x16x128_f8f6f4 a[12:15], v[140:143], v[12:15], a[12:15], v176, v168 op_sel_hi:[0,0,0] cbsz:4 blgp:4// 000000004204: D3AC7800 000351B0 D3AD8C0C 8432198C
	s_add_u32 m0, 0xc00, s65                                   // 000000004214: 807C41FF 00000C00
	buffer_load_dword v189, s[20:23], 0 offen lds              // 00000000421C: E0511000 800500BD
	v_mfma_scale_f32_16x16x128_f8f6f4 a[0:3], v[144:147], v[16:19], a[0:3], v176, v168 op_sel_hi:[0,0,0] cbsz:4 blgp:4// 000000004224: D3AC6000 180351B0 D3AD8C00 84022190
	ds_read_b128 v[44:47], v186 offset:8960                    // 000000004234: D9FE2300 2C0000BA
	v_mfma_scale_f32_16x16x128_f8f6f4 a[4:7], v[144:147], v[20:23], a[4:7], v176, v168 op_sel_hi:[0,0,0] cbsz:4 blgp:4// 00000000423C: D3AC7000 180351B0 D3AD8C04 84122990
	s_add_u32 m0, 0x6300, s64                                  // 00000000424C: 807C40FF 00006300
	buffer_load_dwordx4 v178, s[12:15], 0 offen lds            // 000000004254: E05D1000 800300B2
	v_mfma_scale_f32_16x16x128_f8f6f4 a[8:11], v[148:151], v[16:19], a[8:11], v176, v168 op_sel_hi:[0,0,0] cbsz:4 blgp:4// 00000000425C: D3AC6800 180351B0 D3AD8C08 84222194
	ds_read_b128 v[52:55], v186 offset:9024                    // 00000000426C: D9FE2340 340000BA
	v_mfma_scale_f32_16x16x128_f8f6f4 a[12:15], v[148:151], v[20:23], a[12:15], v176, v168 op_sel_hi:[0,0,0] cbsz:4 blgp:4// 000000004274: D3AC7800 180351B0 D3AD8C0C 84322994
	s_add_u32 m0, 0x7380, s64                                  // 000000004284: 807C40FF 00007380
	buffer_load_dwordx4 v179, s[12:15], 0 offen lds            // 00000000428C: E05D1000 800300B3
	ds_read_b32 v170, v190 offset:4608                         // 000000004294: D86C1200 AA0000BE
	s_waitcnt lgkmcnt(5)                                       // 00000000429C: BF8CC57F
	v_mfma_scale_f32_16x16x128_f8f6f4 a[16:19], v[136:139], v[24:27], a[16:19], v176, v169 op_sel_hi:[0,0,0] cbsz:4 blgp:4// 0000000042A0: D3AC6000 000353B0 D3AD8C10 84423188
	ds_read_b128 v[56:59], v186 offset:12672                   // 0000000042B0: D9FE3180 380000BA
	v_mfma_scale_f32_16x16x128_f8f6f4 a[20:23], v[136:139], v[28:31], a[20:23], v176, v169 op_sel_hi:[0,0,0] cbsz:4 blgp:4// 0000000042B8: D3AC7000 000353B0 D3AD8C14 84523988
	s_add_u32 m0, 0x8400, s64                                  // 0000000042C8: 807C40FF 00008400
	buffer_load_dwordx4 v180, s[12:15], 0 offen lds            // 0000000042D0: E05D1000 800300B4
	v_mfma_scale_f32_16x16x128_f8f6f4 a[24:27], v[140:143], v[24:27], a[24:27], v176, v169 op_sel_hi:[0,0,0] cbsz:4 blgp:4// 0000000042D8: D3AC6800 000353B0 D3AD8C18 8462318C
	ds_read_b128 v[64:67], v186 offset:12736                   // 0000000042E8: D9FE31C0 400000BA
	v_mfma_scale_f32_16x16x128_f8f6f4 a[28:31], v[140:143], v[28:31], a[28:31], v176, v169 op_sel_hi:[0,0,0] cbsz:4 blgp:4// 0000000042F0: D3AC7800 000353B0 D3AD8C1C 8472398C
	s_add_u32 m0, 0x9480, s64                                  // 000000004300: 807C40FF 00009480
	buffer_load_dwordx4 v181, s[12:15], 0 offen lds            // 000000004308: E05D1000 800300B5
	v_mfma_scale_f32_16x16x128_f8f6f4 a[16:19], v[144:147], v[32:35], a[16:19], v176, v169 op_sel_hi:[0,0,0] cbsz:4 blgp:4// 000000004310: D3AC6000 180353B0 D3AD8C10 84424190
	ds_read_b128 v[60:63], v186 offset:13184                   // 000000004320: D9FE3380 3C0000BA
	v_mfma_scale_f32_16x16x128_f8f6f4 a[20:23], v[144:147], v[36:39], a[20:23], v176, v169 op_sel_hi:[0,0,0] cbsz:4 blgp:4// 000000004328: D3AC7000 180353B0 D3AD8C14 84524990
	s_add_u32 m0, 0xa500, s64                                  // 000000004338: 807C40FF 0000A500
	buffer_load_dwordx4 v182, s[12:15], 0 offen lds            // 000000004340: E05D1000 800300B6
	v_mfma_scale_f32_16x16x128_f8f6f4 a[24:27], v[148:151], v[32:35], a[24:27], v176, v169 op_sel_hi:[0,0,0] cbsz:4 blgp:4// 000000004348: D3AC6800 180353B0 D3AD8C18 84624194
	ds_read_b128 v[68:71], v186 offset:13248                   // 000000004358: D9FE33C0 440000BA
	v_mfma_scale_f32_16x16x128_f8f6f4 a[28:31], v[148:151], v[36:39], a[28:31], v176, v169 op_sel_hi:[0,0,0] cbsz:4 blgp:4// 000000004360: D3AC7800 180353B0 D3AD8C1C 84724994
	s_add_u32 m0, 0xb580, s64                                  // 000000004370: 807C40FF 0000B580
	buffer_load_dwordx4 v183, s[12:15], 0 offen lds            // 000000004378: E05D1000 800300B7
	ds_read_b32 v171, v190 offset:4864                         // 000000004380: D86C1300 AB0000BE
	s_waitcnt lgkmcnt(5)                                       // 000000004388: BF8CC57F
	v_mfma_scale_f32_16x16x128_f8f6f4 a[32:35], v[136:139], v[40:43], a[32:35], v176, v170 op_sel_hi:[0,0,0] cbsz:4 blgp:4// 00000000438C: D3AC6000 000355B0 D3AD8C20 84825188
	s_add_u32 s62, 0x400, s60                                  // 00000000439C: 803E3CFF 00000400
	ds_read_b128 v[72:75], v186 offset:16896                   // 0000000043A4: D9FE4200 480000BA
	v_mfma_scale_f32_16x16x128_f8f6f4 a[36:39], v[136:139], v[44:47], a[36:39], v176, v170 op_sel_hi:[0,0,0] cbsz:4 blgp:4// 0000000043AC: D3AC7000 000355B0 D3AD8C24 84925988
	s_cmp_lt_u32 s62, s61                                      // 0000000043BC: BF0A3D3E
	buffer_load_dwordx4 v[120:123], v191, s[16:19], 0 offen    // 0000000043C0: E05C1000 800478BF
	v_mfma_scale_f32_16x16x128_f8f6f4 a[40:43], v[140:143], v[40:43], a[40:43], v176, v170 op_sel_hi:[0,0,0] cbsz:4 blgp:4// 0000000043C8: D3AC6800 000355B0 D3AD8C28 84A2518C
	s_cselect_b32 s66, s66, 0                                  // 0000000043D8: 85428042
	ds_read_b128 v[80:83], v186 offset:16960                   // 0000000043DC: D9FE4240 500000BA
	v_mfma_scale_f32_16x16x128_f8f6f4 a[44:47], v[140:143], v[44:47], a[44:47], v176, v170 op_sel_hi:[0,0,0] cbsz:4 blgp:4// 0000000043E4: D3AC7800 000355B0 D3AD8C2C 84B2598C
	s_cselect_b32 s68, s68, 0                                  // 0000000043F4: 85448044
	s_add_u32 s12, s12, s66                                    // 0000000043F8: 800C420C
	v_mfma_scale_f32_16x16x128_f8f6f4 a[32:35], v[144:147], v[48:51], a[32:35], v176, v170 op_sel_hi:[0,0,0] cbsz:4 blgp:4// 0000000043FC: D3AC6000 180355B0 D3AD8C20 84826190
	s_addc_u32 s13, 0, s13                                     // 00000000440C: 820D0D80
	ds_read_b128 v[76:79], v186 offset:17408                   // 000000004410: D9FE4400 4C0000BA
	v_mfma_scale_f32_16x16x128_f8f6f4 a[36:39], v[144:147], v[52:55], a[36:39], v176, v170 op_sel_hi:[0,0,0] cbsz:4 blgp:4// 000000004418: D3AC7000 180355B0 D3AD8C24 84926990
	s_sub_u32 s14, s14, s66                                    // 000000004428: 808E420E
	buffer_load_dwordx4 v[124:127], v192, s[16:19], 0 offen    // 00000000442C: E05C1000 80047CC0
	v_mfma_scale_f32_16x16x128_f8f6f4 a[40:43], v[148:151], v[48:51], a[40:43], v176, v170 op_sel_hi:[0,0,0] cbsz:4 blgp:4// 000000004434: D3AC6800 180355B0 D3AD8C28 84A26194
	s_add_u32 s20, s20, s68                                    // 000000004444: 80144414
	ds_read_b128 v[84:87], v186 offset:17472                   // 000000004448: D9FE4440 540000BA
	v_mfma_scale_f32_16x16x128_f8f6f4 a[44:47], v[148:151], v[52:55], a[44:47], v176, v170 op_sel_hi:[0,0,0] cbsz:4 blgp:4// 000000004450: D3AC7800 180355B0 D3AD8C2C 84B26994
	s_addc_u32 s21, 0, s21                                     // 000000004460: 82151580
	s_sub_u32 s22, s22, s68                                    // 000000004464: 80964416
	ds_read_b32 v172, v190 offset:5120                         // 000000004468: D86C1400 AC0000BE
	s_waitcnt lgkmcnt(5)                                       // 000000004470: BF8CC57F
	v_mfma_scale_f32_16x16x128_f8f6f4 a[48:51], v[136:139], v[56:59], a[48:51], v176, v171 op_sel_hi:[0,0,0] cbsz:4 blgp:4// 000000004474: D3AC6000 000357B0 D3AD8C30 84C27188
	s_add_u32 s63, 0x400, s60                                  // 000000004484: 803F3CFF 00000400
	ds_read_b128 v[88:91], v186 offset:21120                   // 00000000448C: D9FE5280 580000BA
	v_mfma_scale_f32_16x16x128_f8f6f4 a[52:55], v[136:139], v[60:63], a[52:55], v176, v171 op_sel_hi:[0,0,0] cbsz:4 blgp:4// 000000004494: D3AC7000 000357B0 D3AD8C34 84D27988
	s_cmp_lt_u32 s63, s61                                      // 0000000044A4: BF0A3D3F
	buffer_load_dwordx4 v[128:131], v191, s[16:19], 0 offen offset:1024// 0000000044A8: E05C1400 800480BF
	v_mfma_scale_f32_16x16x128_f8f6f4 a[56:59], v[140:143], v[56:59], a[56:59], v176, v171 op_sel_hi:[0,0,0] cbsz:4 blgp:4// 0000000044B0: D3AC6800 000357B0 D3AD8C38 84E2718C
	s_cselect_b32 s67, s67, 0                                  // 0000000044C0: 85438043
	ds_read_b128 v[96:99], v186 offset:21184                   // 0000000044C4: D9FE52C0 600000BA
	v_mfma_scale_f32_16x16x128_f8f6f4 a[60:63], v[140:143], v[60:63], a[60:63], v176, v171 op_sel_hi:[0,0,0] cbsz:4 blgp:4// 0000000044CC: D3AC7800 000357B0 D3AD8C3C 84F2798C
	s_cselect_b32 s69, s69, 0                                  // 0000000044DC: 85458045
	v_mfma_scale_f32_16x16x128_f8f6f4 a[48:51], v[144:147], v[64:67], a[48:51], v176, v171 op_sel_hi:[0,0,0] cbsz:4 blgp:4// 0000000044E0: D3AC6000 180357B0 D3AD8C30 84C28190
	ds_read_b128 v[92:95], v186 offset:21632                   // 0000000044F0: D9FE5480 5C0000BA
	v_mfma_scale_f32_16x16x128_f8f6f4 a[52:55], v[144:147], v[68:71], a[52:55], v176, v171 op_sel_hi:[0,0,0] cbsz:4 blgp:4// 0000000044F8: D3AC7000 180357B0 D3AD8C34 84D28990
	buffer_load_dwordx4 v[132:135], v192, s[16:19], 0 offen offset:1024// 000000004508: E05C1400 800484C0
	v_mfma_scale_f32_16x16x128_f8f6f4 a[56:59], v[148:151], v[64:67], a[56:59], v176, v171 op_sel_hi:[0,0,0] cbsz:4 blgp:4// 000000004510: D3AC6800 180357B0 D3AD8C38 84E28194
	ds_read_b128 v[100:103], v186 offset:21696                 // 000000004520: D9FE54C0 640000BA
	v_mfma_scale_f32_16x16x128_f8f6f4 a[60:63], v[148:151], v[68:71], a[60:63], v176, v171 op_sel_hi:[0,0,0] cbsz:4 blgp:4// 000000004528: D3AC7800 180357B0 D3AD8C3C 84F28994
	ds_read_b32 v173, v190 offset:5376                         // 000000004538: D86C1500 AD0000BE
	s_waitcnt vmcnt(34) lgkmcnt(5)                             // 000000004540: BF8C8572
	s_barrier                                                  // 000000004544: BF8A0000
	v_mfma_scale_f32_16x16x128_f8f6f4 a[64:67], v[136:139], v[72:75], a[64:67], v176, v172 op_sel_hi:[0,0,0] cbsz:4 blgp:4// 000000004548: D3AC6000 000359B0 D3AD8C40 85029188
	ds_read_b128 v[8:11], v187                                 // 000000004558: D9FE0000 080000BB
	v_mfma_scale_f32_16x16x128_f8f6f4 a[68:71], v[136:139], v[76:79], a[68:71], v176, v172 op_sel_hi:[0,0,0] cbsz:4 blgp:4// 000000004560: D3AC7000 000359B0 D3AD8C44 85129988
	buffer_load_dword v175, v193, s[24:27], 0 offen            // 000000004570: E0501000 8006AFC1
	v_mfma_scale_f32_16x16x128_f8f6f4 a[72:75], v[140:143], v[72:75], a[72:75], v176, v172 op_sel_hi:[0,0,0] cbsz:4 blgp:4// 000000004578: D3AC6800 000359B0 D3AD8C48 8522918C
	s_add_u32 s16, s16, s67                                    // 000000004588: 80104310
	ds_read_b128 v[16:19], v187 offset:64                      // 00000000458C: D9FE0040 100000BB
	v_mfma_scale_f32_16x16x128_f8f6f4 a[76:79], v[140:143], v[76:79], a[76:79], v176, v172 op_sel_hi:[0,0,0] cbsz:4 blgp:4// 000000004594: D3AC7800 000359B0 D3AD8C4C 8532998C
	s_addc_u32 s17, 0, s17                                     // 0000000045A4: 82111180
	s_sub_u32 s18, s18, s67                                    // 0000000045A8: 80924312
	v_mfma_scale_f32_16x16x128_f8f6f4 a[64:67], v[144:147], v[80:83], a[64:67], v176, v172 op_sel_hi:[0,0,0] cbsz:4 blgp:4// 0000000045AC: D3AC6000 180359B0 D3AD8C40 8502A190
	s_add_u32 s24, s24, s69                                    // 0000000045BC: 80184518
	ds_read_b128 v[12:15], v187 offset:512                     // 0000000045C0: D9FE0200 0C0000BB
	v_mfma_scale_f32_16x16x128_f8f6f4 a[68:71], v[144:147], v[84:87], a[68:71], v176, v172 op_sel_hi:[0,0,0] cbsz:4 blgp:4// 0000000045C8: D3AC7000 180359B0 D3AD8C44 8512A990
	s_addc_u32 s25, 0, s25                                     // 0000000045D8: 82191980
	s_sub_u32 s26, s26, s69                                    // 0000000045DC: 809A451A
	v_mfma_scale_f32_16x16x128_f8f6f4 a[72:75], v[148:151], v[80:83], a[72:75], v176, v172 op_sel_hi:[0,0,0] cbsz:4 blgp:4// 0000000045E0: D3AC6800 180359B0 D3AD8C48 8522A194
	s_addk_i32 s60, 0x100                                      // 0000000045F0: B73C0100
	ds_read_b128 v[20:23], v187 offset:576                     // 0000000045F4: D9FE0240 140000BB
	v_mfma_scale_f32_16x16x128_f8f6f4 a[76:79], v[148:151], v[84:87], a[76:79], v176, v172 op_sel_hi:[0,0,0] cbsz:4 blgp:4// 0000000045FC: D3AC7800 180359B0 D3AD8C4C 8532A994
	s_cmp_lt_i32 s60, s61                                      // 00000000460C: BF043D3C
	ds_read_b32 v168, v190 offset:6144                         // 000000004610: D86C1800 A80000BE
	s_waitcnt lgkmcnt(5)                                       // 000000004618: BF8CC57F
	v_mfma_scale_f32_16x16x128_f8f6f4 a[80:83], v[136:139], v[88:91], a[80:83], v176, v173 op_sel_hi:[0,0,0] cbsz:4 blgp:4// 00000000461C: D3AC6000 00035BB0 D3AD8C50 8542B188
	ds_read_b128 v[24:27], v187 offset:4224                    // 00000000462C: D9FE1080 180000BB
	v_mfma_scale_f32_16x16x128_f8f6f4 a[84:87], v[136:139], v[92:95], a[84:87], v176, v173 op_sel_hi:[0,0,0] cbsz:4 blgp:4// 000000004634: D3AC7000 00035BB0 D3AD8C54 8552B988
	v_mfma_scale_f32_16x16x128_f8f6f4 a[88:91], v[140:143], v[88:91], a[88:91], v176, v173 op_sel_hi:[0,0,0] cbsz:4 blgp:4// 000000004644: D3AC6800 00035BB0 D3AD8C58 8562B18C
	ds_read_b128 v[32:35], v187 offset:4288                    // 000000004654: D9FE10C0 200000BB
	v_mfma_scale_f32_16x16x128_f8f6f4 a[92:95], v[140:143], v[92:95], a[92:95], v176, v173 op_sel_hi:[0,0,0] cbsz:4 blgp:4// 00000000465C: D3AC7800 00035BB0 D3AD8C5C 8572B98C
	v_mfma_scale_f32_16x16x128_f8f6f4 a[80:83], v[144:147], v[96:99], a[80:83], v176, v173 op_sel_hi:[0,0,0] cbsz:4 blgp:4// 00000000466C: D3AC6000 18035BB0 D3AD8C50 8542C190
	ds_read_b128 v[28:31], v187 offset:4736                    // 00000000467C: D9FE1280 1C0000BB
	v_mfma_scale_f32_16x16x128_f8f6f4 a[84:87], v[144:147], v[100:103], a[84:87], v176, v173 op_sel_hi:[0,0,0] cbsz:4 blgp:4// 000000004684: D3AC7000 18035BB0 D3AD8C54 8552C990
	v_mfma_scale_f32_16x16x128_f8f6f4 a[88:91], v[148:151], v[96:99], a[88:91], v176, v173 op_sel_hi:[0,0,0] cbsz:4 blgp:4// 000000004694: D3AC6800 18035BB0 D3AD8C58 8562C194
	ds_read_b128 v[36:39], v187 offset:4800                    // 0000000046A4: D9FE12C0 240000BB
	v_mfma_scale_f32_16x16x128_f8f6f4 a[92:95], v[148:151], v[100:103], a[92:95], v176, v173 op_sel_hi:[0,0,0] cbsz:4 blgp:4// 0000000046AC: D3AC7800 18035BB0 D3AD8C5C 8572C994
	ds_read_b32 v169, v190 offset:6400                         // 0000000046BC: D86C1900 A90000BE
	s_cbranch_scc0 label_0D15                                  // 0000000046C4: BF840663
	s_waitcnt vmcnt(26) lgkmcnt(5)                             // 0000000046C8: BF8C457A
	s_barrier                                                  // 0000000046CC: BF8A0000
	v_mfma_scale_f32_16x16x128_f8f6f4 a[0:3], v[152:155], v[8:11], a[0:3], v177, v168 op_sel_hi:[0,0,0] cbsz:4 blgp:4// 0000000046D0: D3AC6000 000351B1 D3AD8C00 84021198
	ds_read_b128 v[40:43], v187 offset:8448                    // 0000000046E0: D9FE2100 280000BB
	v_mfma_scale_f32_16x16x128_f8f6f4 a[4:7], v[152:155], v[12:15], a[4:7], v177, v168 op_sel_hi:[0,0,0] cbsz:4 blgp:4// 0000000046E8: D3AC7000 000351B1 D3AD8C04 84121998
	s_add_u32 m0, 0x1000, s65                                  // 0000000046F8: 807C41FF 00001000
	buffer_load_dword v188, s[20:23], 0 offen lds              // 000000004700: E0511000 800500BC
	v_mfma_scale_f32_16x16x128_f8f6f4 a[8:11], v[156:159], v[8:11], a[8:11], v177, v168 op_sel_hi:[0,0,0] cbsz:4 blgp:4// 000000004708: D3AC6800 000351B1 D3AD8C08 8422119C
	ds_read_b128 v[48:51], v187 offset:8512                    // 000000004718: D9FE2140 300000BB
	v_mfma_scale_f32_16x16x128_f8f6f4 a[12:15], v[156:159], v[12:15], a[12:15], v177, v168 op_sel_hi:[0,0,0] cbsz:4 blgp:4// 000000004720: D3AC7800 000351B1 D3AD8C0C 8432199C
	s_add_u32 m0, 0x1400, s65                                  // 000000004730: 807C41FF 00001400
	buffer_load_dword v189, s[20:23], 0 offen lds              // 000000004738: E0511000 800500BD
	v_mfma_scale_f32_16x16x128_f8f6f4 a[0:3], v[160:163], v[16:19], a[0:3], v177, v168 op_sel_hi:[0,0,0] cbsz:4 blgp:4// 000000004740: D3AC6000 180351B1 D3AD8C00 840221A0
	ds_read_b128 v[44:47], v187 offset:8960                    // 000000004750: D9FE2300 2C0000BB
	v_mfma_scale_f32_16x16x128_f8f6f4 a[4:7], v[160:163], v[20:23], a[4:7], v177, v168 op_sel_hi:[0,0,0] cbsz:4 blgp:4// 000000004758: D3AC7000 180351B1 D3AD8C04 841229A0
	s_add_u32 m0, 0xc600, s64                                  // 000000004768: 807C40FF 0000C600
	buffer_load_dwordx4 v178, s[12:15], 0 offen lds            // 000000004770: E05D1000 800300B2
	v_mfma_scale_f32_16x16x128_f8f6f4 a[8:11], v[164:167], v[16:19], a[8:11], v177, v168 op_sel_hi:[0,0,0] cbsz:4 blgp:4// 000000004778: D3AC6800 180351B1 D3AD8C08 842221A4
	ds_read_b128 v[52:55], v187 offset:9024                    // 000000004788: D9FE2340 340000BB
	v_mfma_scale_f32_16x16x128_f8f6f4 a[12:15], v[164:167], v[20:23], a[12:15], v177, v168 op_sel_hi:[0,0,0] cbsz:4 blgp:4// 000000004790: D3AC7800 180351B1 D3AD8C0C 843229A4
	s_add_u32 m0, 0xd680, s64                                  // 0000000047A0: 807C40FF 0000D680
	buffer_load_dwordx4 v179, s[12:15], 0 offen lds            // 0000000047A8: E05D1000 800300B3
	ds_read_b32 v170, v190 offset:6656                         // 0000000047B0: D86C1A00 AA0000BE
	s_waitcnt lgkmcnt(5)                                       // 0000000047B8: BF8CC57F
	v_mfma_scale_f32_16x16x128_f8f6f4 a[16:19], v[152:155], v[24:27], a[16:19], v177, v169 op_sel_hi:[0,0,0] cbsz:4 blgp:4// 0000000047BC: D3AC6000 000353B1 D3AD8C10 84423198
	ds_read_b128 v[56:59], v187 offset:12672                   // 0000000047CC: D9FE3180 380000BB
	v_mfma_scale_f32_16x16x128_f8f6f4 a[20:23], v[152:155], v[28:31], a[20:23], v177, v169 op_sel_hi:[0,0,0] cbsz:4 blgp:4// 0000000047D4: D3AC7000 000353B1 D3AD8C14 84523998
	s_add_u32 m0, 0xe700, s64                                  // 0000000047E4: 807C40FF 0000E700
	buffer_load_dwordx4 v180, s[12:15], 0 offen lds            // 0000000047EC: E05D1000 800300B4
	v_mfma_scale_f32_16x16x128_f8f6f4 a[24:27], v[156:159], v[24:27], a[24:27], v177, v169 op_sel_hi:[0,0,0] cbsz:4 blgp:4// 0000000047F4: D3AC6800 000353B1 D3AD8C18 8462319C
	ds_read_b128 v[64:67], v187 offset:12736                   // 000000004804: D9FE31C0 400000BB
	v_mfma_scale_f32_16x16x128_f8f6f4 a[28:31], v[156:159], v[28:31], a[28:31], v177, v169 op_sel_hi:[0,0,0] cbsz:4 blgp:4// 00000000480C: D3AC7800 000353B1 D3AD8C1C 8472399C
	s_add_u32 m0, 0xf780, s64                                  // 00000000481C: 807C40FF 0000F780
	buffer_load_dwordx4 v181, s[12:15], 0 offen lds            // 000000004824: E05D1000 800300B5
	v_mfma_scale_f32_16x16x128_f8f6f4 a[16:19], v[160:163], v[32:35], a[16:19], v177, v169 op_sel_hi:[0,0,0] cbsz:4 blgp:4// 00000000482C: D3AC6000 180353B1 D3AD8C10 844241A0
	ds_read_b128 v[60:63], v187 offset:13184                   // 00000000483C: D9FE3380 3C0000BB
	v_mfma_scale_f32_16x16x128_f8f6f4 a[20:23], v[160:163], v[36:39], a[20:23], v177, v169 op_sel_hi:[0,0,0] cbsz:4 blgp:4// 000000004844: D3AC7000 180353B1 D3AD8C14 845249A0
	s_add_u32 m0, 0x10800, s64                                 // 000000004854: 807C40FF 00010800
	buffer_load_dwordx4 v182, s[12:15], 0 offen lds            // 00000000485C: E05D1000 800300B6
	v_mfma_scale_f32_16x16x128_f8f6f4 a[24:27], v[164:167], v[32:35], a[24:27], v177, v169 op_sel_hi:[0,0,0] cbsz:4 blgp:4// 000000004864: D3AC6800 180353B1 D3AD8C18 846241A4
	ds_read_b128 v[68:71], v187 offset:13248                   // 000000004874: D9FE33C0 440000BB
	v_mfma_scale_f32_16x16x128_f8f6f4 a[28:31], v[164:167], v[36:39], a[28:31], v177, v169 op_sel_hi:[0,0,0] cbsz:4 blgp:4// 00000000487C: D3AC7800 180353B1 D3AD8C1C 847249A4
	s_add_u32 m0, 0x11880, s64                                 // 00000000488C: 807C40FF 00011880
	buffer_load_dwordx4 v183, s[12:15], 0 offen lds            // 000000004894: E05D1000 800300B7
	ds_read_b32 v171, v190 offset:6912                         // 00000000489C: D86C1B00 AB0000BE
	s_waitcnt lgkmcnt(5)                                       // 0000000048A4: BF8CC57F
	v_mfma_scale_f32_16x16x128_f8f6f4 a[32:35], v[152:155], v[40:43], a[32:35], v177, v170 op_sel_hi:[0,0,0] cbsz:4 blgp:4// 0000000048A8: D3AC6000 000355B1 D3AD8C20 84825198
	s_add_u32 s62, 0x400, s60                                  // 0000000048B8: 803E3CFF 00000400
	ds_read_b128 v[72:75], v187 offset:16896                   // 0000000048C0: D9FE4200 480000BB
	v_mfma_scale_f32_16x16x128_f8f6f4 a[36:39], v[152:155], v[44:47], a[36:39], v177, v170 op_sel_hi:[0,0,0] cbsz:4 blgp:4// 0000000048C8: D3AC7000 000355B1 D3AD8C24 84925998
	s_cmp_lt_u32 s62, s61                                      // 0000000048D8: BF0A3D3E
	buffer_load_dwordx4 v[136:139], v191, s[16:19], 0 offen    // 0000000048DC: E05C1000 800488BF
	v_mfma_scale_f32_16x16x128_f8f6f4 a[40:43], v[156:159], v[40:43], a[40:43], v177, v170 op_sel_hi:[0,0,0] cbsz:4 blgp:4// 0000000048E4: D3AC6800 000355B1 D3AD8C28 84A2519C
	s_cselect_b32 s66, s66, 0                                  // 0000000048F4: 85428042
	ds_read_b128 v[80:83], v187 offset:16960                   // 0000000048F8: D9FE4240 500000BB
	v_mfma_scale_f32_16x16x128_f8f6f4 a[44:47], v[156:159], v[44:47], a[44:47], v177, v170 op_sel_hi:[0,0,0] cbsz:4 blgp:4// 000000004900: D3AC7800 000355B1 D3AD8C2C 84B2599C
	s_cselect_b32 s68, s68, 0                                  // 000000004910: 85448044
	s_add_u32 s12, s12, s66                                    // 000000004914: 800C420C
	v_mfma_scale_f32_16x16x128_f8f6f4 a[32:35], v[160:163], v[48:51], a[32:35], v177, v170 op_sel_hi:[0,0,0] cbsz:4 blgp:4// 000000004918: D3AC6000 180355B1 D3AD8C20 848261A0
	s_addc_u32 s13, 0, s13                                     // 000000004928: 820D0D80
	ds_read_b128 v[76:79], v187 offset:17408                   // 00000000492C: D9FE4400 4C0000BB
	v_mfma_scale_f32_16x16x128_f8f6f4 a[36:39], v[160:163], v[52:55], a[36:39], v177, v170 op_sel_hi:[0,0,0] cbsz:4 blgp:4// 000000004934: D3AC7000 180355B1 D3AD8C24 849269A0
	s_sub_u32 s14, s14, s66                                    // 000000004944: 808E420E
	buffer_load_dwordx4 v[140:143], v192, s[16:19], 0 offen    // 000000004948: E05C1000 80048CC0
	v_mfma_scale_f32_16x16x128_f8f6f4 a[40:43], v[164:167], v[48:51], a[40:43], v177, v170 op_sel_hi:[0,0,0] cbsz:4 blgp:4// 000000004950: D3AC6800 180355B1 D3AD8C28 84A261A4
	s_add_u32 s20, s20, s68                                    // 000000004960: 80144414
	ds_read_b128 v[84:87], v187 offset:17472                   // 000000004964: D9FE4440 540000BB
	v_mfma_scale_f32_16x16x128_f8f6f4 a[44:47], v[164:167], v[52:55], a[44:47], v177, v170 op_sel_hi:[0,0,0] cbsz:4 blgp:4// 00000000496C: D3AC7800 180355B1 D3AD8C2C 84B269A4
	s_addc_u32 s21, 0, s21                                     // 00000000497C: 82151580
	s_sub_u32 s22, s22, s68                                    // 000000004980: 80964416
	ds_read_b32 v172, v190 offset:7168                         // 000000004984: D86C1C00 AC0000BE
	s_waitcnt lgkmcnt(5)                                       // 00000000498C: BF8CC57F
	v_mfma_scale_f32_16x16x128_f8f6f4 a[48:51], v[152:155], v[56:59], a[48:51], v177, v171 op_sel_hi:[0,0,0] cbsz:4 blgp:4// 000000004990: D3AC6000 000357B1 D3AD8C30 84C27198
	s_add_u32 s63, 0x400, s60                                  // 0000000049A0: 803F3CFF 00000400
	ds_read_b128 v[88:91], v187 offset:21120                   // 0000000049A8: D9FE5280 580000BB
	v_mfma_scale_f32_16x16x128_f8f6f4 a[52:55], v[152:155], v[60:63], a[52:55], v177, v171 op_sel_hi:[0,0,0] cbsz:4 blgp:4// 0000000049B0: D3AC7000 000357B1 D3AD8C34 84D27998
	s_cmp_lt_u32 s63, s61                                      // 0000000049C0: BF0A3D3F
	buffer_load_dwordx4 v[144:147], v191, s[16:19], 0 offen offset:1024// 0000000049C4: E05C1400 800490BF
	v_mfma_scale_f32_16x16x128_f8f6f4 a[56:59], v[156:159], v[56:59], a[56:59], v177, v171 op_sel_hi:[0,0,0] cbsz:4 blgp:4// 0000000049CC: D3AC6800 000357B1 D3AD8C38 84E2719C
	s_cselect_b32 s67, s67, 0                                  // 0000000049DC: 85438043
	ds_read_b128 v[96:99], v187 offset:21184                   // 0000000049E0: D9FE52C0 600000BB
	v_mfma_scale_f32_16x16x128_f8f6f4 a[60:63], v[156:159], v[60:63], a[60:63], v177, v171 op_sel_hi:[0,0,0] cbsz:4 blgp:4// 0000000049E8: D3AC7800 000357B1 D3AD8C3C 84F2799C
	s_cselect_b32 s69, s69, 0                                  // 0000000049F8: 85458045
	v_mfma_scale_f32_16x16x128_f8f6f4 a[48:51], v[160:163], v[64:67], a[48:51], v177, v171 op_sel_hi:[0,0,0] cbsz:4 blgp:4// 0000000049FC: D3AC6000 180357B1 D3AD8C30 84C281A0
	ds_read_b128 v[92:95], v187 offset:21632                   // 000000004A0C: D9FE5480 5C0000BB
	v_mfma_scale_f32_16x16x128_f8f6f4 a[52:55], v[160:163], v[68:71], a[52:55], v177, v171 op_sel_hi:[0,0,0] cbsz:4 blgp:4// 000000004A14: D3AC7000 180357B1 D3AD8C34 84D289A0
	buffer_load_dwordx4 v[148:151], v192, s[16:19], 0 offen offset:1024// 000000004A24: E05C1400 800494C0
	v_mfma_scale_f32_16x16x128_f8f6f4 a[56:59], v[164:167], v[64:67], a[56:59], v177, v171 op_sel_hi:[0,0,0] cbsz:4 blgp:4// 000000004A2C: D3AC6800 180357B1 D3AD8C38 84E281A4
	ds_read_b128 v[100:103], v187 offset:21696                 // 000000004A3C: D9FE54C0 640000BB
	v_mfma_scale_f32_16x16x128_f8f6f4 a[60:63], v[164:167], v[68:71], a[60:63], v177, v171 op_sel_hi:[0,0,0] cbsz:4 blgp:4// 000000004A44: D3AC7800 180357B1 D3AD8C3C 84F289A4
	ds_read_b32 v173, v190 offset:7424                         // 000000004A54: D86C1D00 AD0000BE
	s_waitcnt vmcnt(34) lgkmcnt(5)                             // 000000004A5C: BF8C8572
	s_barrier                                                  // 000000004A60: BF8A0000
	v_mfma_scale_f32_16x16x128_f8f6f4 a[64:67], v[152:155], v[72:75], a[64:67], v177, v172 op_sel_hi:[0,0,0] cbsz:4 blgp:4// 000000004A64: D3AC6000 000359B1 D3AD8C40 85029198
	ds_read_b128 v[8:11], v184                                 // 000000004A74: D9FE0000 080000B8
	v_mfma_scale_f32_16x16x128_f8f6f4 a[68:71], v[152:155], v[76:79], a[68:71], v177, v172 op_sel_hi:[0,0,0] cbsz:4 blgp:4// 000000004A7C: D3AC7000 000359B1 D3AD8C44 85129998
	buffer_load_dword v176, v193, s[24:27], 0 offen            // 000000004A8C: E0501000 8006B0C1
	v_mfma_scale_f32_16x16x128_f8f6f4 a[72:75], v[156:159], v[72:75], a[72:75], v177, v172 op_sel_hi:[0,0,0] cbsz:4 blgp:4// 000000004A94: D3AC6800 000359B1 D3AD8C48 8522919C
	s_add_u32 s16, s16, s67                                    // 000000004AA4: 80104310
	ds_read_b128 v[16:19], v184 offset:64                      // 000000004AA8: D9FE0040 100000B8
	v_mfma_scale_f32_16x16x128_f8f6f4 a[76:79], v[156:159], v[76:79], a[76:79], v177, v172 op_sel_hi:[0,0,0] cbsz:4 blgp:4// 000000004AB0: D3AC7800 000359B1 D3AD8C4C 8532999C
	s_addc_u32 s17, 0, s17                                     // 000000004AC0: 82111180
	s_sub_u32 s18, s18, s67                                    // 000000004AC4: 80924312
	v_mfma_scale_f32_16x16x128_f8f6f4 a[64:67], v[160:163], v[80:83], a[64:67], v177, v172 op_sel_hi:[0,0,0] cbsz:4 blgp:4// 000000004AC8: D3AC6000 180359B1 D3AD8C40 8502A1A0
	s_add_u32 s24, s24, s69                                    // 000000004AD8: 80184518
	ds_read_b128 v[12:15], v184 offset:512                     // 000000004ADC: D9FE0200 0C0000B8
	v_mfma_scale_f32_16x16x128_f8f6f4 a[68:71], v[160:163], v[84:87], a[68:71], v177, v172 op_sel_hi:[0,0,0] cbsz:4 blgp:4// 000000004AE4: D3AC7000 180359B1 D3AD8C44 8512A9A0
	s_addc_u32 s25, 0, s25                                     // 000000004AF4: 82191980
	s_sub_u32 s26, s26, s69                                    // 000000004AF8: 809A451A
	v_mfma_scale_f32_16x16x128_f8f6f4 a[72:75], v[164:167], v[80:83], a[72:75], v177, v172 op_sel_hi:[0,0,0] cbsz:4 blgp:4// 000000004AFC: D3AC6800 180359B1 D3AD8C48 8522A1A4
	s_addk_i32 s60, 0x100                                      // 000000004B0C: B73C0100
	ds_read_b128 v[20:23], v184 offset:576                     // 000000004B10: D9FE0240 140000B8
	v_mfma_scale_f32_16x16x128_f8f6f4 a[76:79], v[164:167], v[84:87], a[76:79], v177, v172 op_sel_hi:[0,0,0] cbsz:4 blgp:4// 000000004B18: D3AC7800 180359B1 D3AD8C4C 8532A9A4
	s_cmp_lt_i32 s60, s61                                      // 000000004B28: BF043D3C
	ds_read_b32 v168, v190                                     // 000000004B2C: D86C0000 A80000BE
	s_waitcnt lgkmcnt(5)                                       // 000000004B34: BF8CC57F
	v_mfma_scale_f32_16x16x128_f8f6f4 a[80:83], v[152:155], v[88:91], a[80:83], v177, v173 op_sel_hi:[0,0,0] cbsz:4 blgp:4// 000000004B38: D3AC6000 00035BB1 D3AD8C50 8542B198
	ds_read_b128 v[24:27], v184 offset:4224                    // 000000004B48: D9FE1080 180000B8
	v_mfma_scale_f32_16x16x128_f8f6f4 a[84:87], v[152:155], v[92:95], a[84:87], v177, v173 op_sel_hi:[0,0,0] cbsz:4 blgp:4// 000000004B50: D3AC7000 00035BB1 D3AD8C54 8552B998
	v_mfma_scale_f32_16x16x128_f8f6f4 a[88:91], v[156:159], v[88:91], a[88:91], v177, v173 op_sel_hi:[0,0,0] cbsz:4 blgp:4// 000000004B60: D3AC6800 00035BB1 D3AD8C58 8562B19C
	ds_read_b128 v[32:35], v184 offset:4288                    // 000000004B70: D9FE10C0 200000B8
	v_mfma_scale_f32_16x16x128_f8f6f4 a[92:95], v[156:159], v[92:95], a[92:95], v177, v173 op_sel_hi:[0,0,0] cbsz:4 blgp:4// 000000004B78: D3AC7800 00035BB1 D3AD8C5C 8572B99C
	v_mfma_scale_f32_16x16x128_f8f6f4 a[80:83], v[160:163], v[96:99], a[80:83], v177, v173 op_sel_hi:[0,0,0] cbsz:4 blgp:4// 000000004B88: D3AC6000 18035BB1 D3AD8C50 8542C1A0
	ds_read_b128 v[28:31], v184 offset:4736                    // 000000004B98: D9FE1280 1C0000B8
	v_mfma_scale_f32_16x16x128_f8f6f4 a[84:87], v[160:163], v[100:103], a[84:87], v177, v173 op_sel_hi:[0,0,0] cbsz:4 blgp:4// 000000004BA0: D3AC7000 18035BB1 D3AD8C54 8552C9A0
	v_mfma_scale_f32_16x16x128_f8f6f4 a[88:91], v[164:167], v[96:99], a[88:91], v177, v173 op_sel_hi:[0,0,0] cbsz:4 blgp:4// 000000004BB0: D3AC6800 18035BB1 D3AD8C58 8562C1A4
	ds_read_b128 v[36:39], v184 offset:4800                    // 000000004BC0: D9FE12C0 240000B8
	v_mfma_scale_f32_16x16x128_f8f6f4 a[92:95], v[164:167], v[100:103], a[92:95], v177, v173 op_sel_hi:[0,0,0] cbsz:4 blgp:4// 000000004BC8: D3AC7800 18035BB1 D3AD8C5C 8572C9A4
	ds_read_b32 v169, v190 offset:256                          // 000000004BD8: D86C0100 A90000BE
	s_cbranch_scc0 label_0D15                                  // 000000004BE0: BF84051C
	s_branch label_02DF                                        // 000000004BE4: BF82FAE5

0000000000004be8 <label_07FA>:
	s_waitcnt vmcnt(26) lgkmcnt(5)                             // 000000004BE8: BF8C457A
	s_barrier                                                  // 000000004BEC: BF8A0000
	v_mfma_scale_f32_16x16x128_f8f6f4 a[0:3], v[104:107], v[8:11], a[0:3], v174, v168 op_sel_hi:[0,0,0] cbsz:4 blgp:4// 000000004BF0: D3AC6000 000351AE D3AD8C00 84021168
	s_add_u32 m0, 0x1800, s65                                  // 000000004C00: 807C41FF 00001800
	buffer_load_dword v188, s[20:23], 0 offen lds              // 000000004C08: E0511000 800500BC
	v_mfma_scale_f32_16x16x128_f8f6f4 a[4:7], v[104:107], v[12:15], a[4:7], v174, v168 op_sel_hi:[0,0,0] cbsz:4 blgp:4// 000000004C10: D3AC1000 000351AE D3AD8C04 84121968
	ds_read_b128 v[40:43], v184 offset:8448                    // 000000004C20: D9FE2100 280000B8
	v_mfma_scale_f32_16x16x128_f8f6f4 a[8:11], v[108:111], v[8:11], a[8:11], v174, v168 op_sel_hi:[0,0,0] cbsz:4 blgp:4// 000000004C28: D3AC0800 000351AE D3AD8C08 8422116C
	s_add_u32 m0, 0x1c00, s65                                  // 000000004C38: 807C41FF 00001C00
	buffer_load_dword v189, s[20:23], 0 offen lds              // 000000004C40: E0511000 800500BD
	v_mfma_scale_f32_16x16x128_f8f6f4 a[12:15], v[108:111], v[12:15], a[12:15], v174, v168 op_sel_hi:[0,0,0] cbsz:4 blgp:4// 000000004C48: D3AC7800 000351AE D3AD8C0C 8432196C
	ds_read_b128 v[48:51], v184 offset:8512                    // 000000004C58: D9FE2140 300000B8
	v_mfma_scale_f32_16x16x128_f8f6f4 a[0:3], v[112:115], v[16:19], a[0:3], v174, v168 op_sel_hi:[0,0,0] cbsz:4 blgp:4// 000000004C60: D3AC6000 180351AE D3AD8C00 84022170
	s_add_u32 m0, 0x12900, s64                                 // 000000004C70: 807C40FF 00012900
	buffer_load_dwordx4 v178, s[12:15], 0 offen lds            // 000000004C78: E05D1000 800300B2
	v_mfma_scale_f32_16x16x128_f8f6f4 a[4:7], v[112:115], v[20:23], a[4:7], v174, v168 op_sel_hi:[0,0,0] cbsz:4 blgp:4// 000000004C80: D3AC3000 180351AE D3AD8C04 84122970
	ds_read_b128 v[44:47], v184 offset:8960                    // 000000004C90: D9FE2300 2C0000B8
	v_mfma_scale_f32_16x16x128_f8f6f4 a[8:11], v[116:119], v[16:19], a[8:11], v174, v168 op_sel_hi:[0,0,0] cbsz:4 blgp:4// 000000004C98: D3AC6800 180351AE D3AD8C08 84222174
	s_add_u32 m0, 0x13980, s64                                 // 000000004CA8: 807C40FF 00013980
	buffer_load_dwordx4 v179, s[12:15], 0 offen lds            // 000000004CB0: E05D1000 800300B3
	v_mfma_scale_f32_16x16x128_f8f6f4 a[12:15], v[116:119], v[20:23], a[12:15], v174, v168 op_sel_hi:[0,0,0] cbsz:4 blgp:4// 000000004CB8: D3AC7800 180351AE D3AD8C0C 84322974
	ds_read_b128 v[52:55], v184 offset:9024                    // 000000004CC8: D9FE2340 340000B8
	ds_read_b32 v170, v190 offset:512                          // 000000004CD0: D86C0200 AA0000BE
	s_waitcnt lgkmcnt(5)                                       // 000000004CD8: BF8CC57F
	v_mfma_scale_f32_16x16x128_f8f6f4 a[16:19], v[104:107], v[24:27], a[16:19], v174, v169 op_sel_hi:[0,0,0] cbsz:4 blgp:4// 000000004CDC: D3AC6000 000353AE D3AD8C10 84423168
	s_add_u32 m0, 0x14a00, s64                                 // 000000004CEC: 807C40FF 00014A00
	buffer_load_dwordx4 v180, s[12:15], 0 offen lds            // 000000004CF4: E05D1000 800300B4
	v_mfma_scale_f32_16x16x128_f8f6f4 a[20:23], v[104:107], v[28:31], a[20:23], v174, v169 op_sel_hi:[0,0,0] cbsz:4 blgp:4// 000000004CFC: D3AC7000 000353AE D3AD8C14 84523968
	ds_read_b128 v[56:59], v184 offset:12672                   // 000000004D0C: D9FE3180 380000B8
	v_mfma_scale_f32_16x16x128_f8f6f4 a[24:27], v[108:111], v[24:27], a[24:27], v174, v169 op_sel_hi:[0,0,0] cbsz:4 blgp:4// 000000004D14: D3AC2800 000353AE D3AD8C18 8462316C
	s_add_u32 m0, 0x15a80, s64                                 // 000000004D24: 807C40FF 00015A80
	buffer_load_dwordx4 v181, s[12:15], 0 offen lds            // 000000004D2C: E05D1000 800300B5
	v_mfma_scale_f32_16x16x128_f8f6f4 a[28:31], v[108:111], v[28:31], a[28:31], v174, v169 op_sel_hi:[0,0,0] cbsz:4 blgp:4// 000000004D34: D3AC7800 000353AE D3AD8C1C 8472396C
	ds_read_b128 v[64:67], v184 offset:12736                   // 000000004D44: D9FE31C0 400000B8
	v_mfma_scale_f32_16x16x128_f8f6f4 a[16:19], v[112:115], v[32:35], a[16:19], v174, v169 op_sel_hi:[0,0,0] cbsz:4 blgp:4// 000000004D4C: D3AC6000 180353AE D3AD8C10 84424170
	s_add_u32 m0, 0x16b00, s64                                 // 000000004D5C: 807C40FF 00016B00
	buffer_load_dwordx4 v182, s[12:15], 0 offen lds            // 000000004D64: E05D1000 800300B6
	v_mfma_scale_f32_16x16x128_f8f6f4 a[20:23], v[112:115], v[36:39], a[20:23], v174, v169 op_sel_hi:[0,0,0] cbsz:4 blgp:4// 000000004D6C: D3AC7000 180353AE D3AD8C14 84524970
	ds_read_b128 v[60:63], v184 offset:13184                   // 000000004D7C: D9FE3380 3C0000B8
	v_mfma_scale_f32_16x16x128_f8f6f4 a[24:27], v[116:119], v[32:35], a[24:27], v174, v169 op_sel_hi:[0,0,0] cbsz:4 blgp:4// 000000004D84: D3AC6800 180353AE D3AD8C18 84624174
	s_add_u32 m0, 0x17b80, s64                                 // 000000004D94: 807C40FF 00017B80
	buffer_load_dwordx4 v183, s[12:15], 0 offen lds            // 000000004D9C: E05D1000 800300B7
	v_mfma_scale_f32_16x16x128_f8f6f4 a[28:31], v[116:119], v[36:39], a[28:31], v174, v169 op_sel_hi:[0,0,0] cbsz:4 blgp:4// 000000004DA4: D3AC7800 180353AE D3AD8C1C 84724974
	s_add_u32 s62, 0x400, s60                                  // 000000004DB4: 803E3CFF 00000400
	ds_read_b128 v[68:71], v184 offset:13248                   // 000000004DBC: D9FE33C0 440000B8
	ds_read_b32 v171, v190 offset:768                          // 000000004DC4: D86C0300 AB0000BE
	s_waitcnt lgkmcnt(5)                                       // 000000004DCC: BF8CC57F
	v_mfma_scale_f32_16x16x128_f8f6f4 a[32:35], v[104:107], v[40:43], a[32:35], v174, v170 op_sel_hi:[0,0,0] cbsz:4 blgp:4// 000000004DD0: D3AC6000 000355AE D3AD8C20 84825168
	s_cmp_lt_u32 s62, s61                                      // 000000004DE0: BF0A3D3E
	buffer_load_dwordx4 v[152:155], v191, s[16:19], 0 offen    // 000000004DE4: E05C1000 800498BF
	v_mfma_scale_f32_16x16x128_f8f6f4 a[36:39], v[104:107], v[44:47], a[36:39], v174, v170 op_sel_hi:[0,0,0] cbsz:4 blgp:4// 000000004DEC: D3AC7000 000355AE D3AD8C24 84925968
	s_cselect_b32 s66, s66, 0                                  // 000000004DFC: 85428042
	ds_read_b128 v[72:75], v184 offset:16896                   // 000000004E00: D9FE4200 480000B8
	v_mfma_scale_f32_16x16x128_f8f6f4 a[40:43], v[108:111], v[40:43], a[40:43], v174, v170 op_sel_hi:[0,0,0] cbsz:4 blgp:4// 000000004E08: D3AC6800 000355AE D3AD8C28 84A2516C
	s_cselect_b32 s68, s68, 0                                  // 000000004E18: 85448044
	s_add_u32 s12, s12, s66                                    // 000000004E1C: 800C420C
	v_mfma_scale_f32_16x16x128_f8f6f4 a[44:47], v[108:111], v[44:47], a[44:47], v174, v170 op_sel_hi:[0,0,0] cbsz:4 blgp:4// 000000004E20: D3AC7800 000355AE D3AD8C2C 84B2596C
	s_addc_u32 s13, 0, s13                                     // 000000004E30: 820D0D80
	ds_read_b128 v[80:83], v184 offset:16960                   // 000000004E34: D9FE4240 500000B8
	v_mfma_scale_f32_16x16x128_f8f6f4 a[32:35], v[112:115], v[48:51], a[32:35], v174, v170 op_sel_hi:[0,0,0] cbsz:4 blgp:4// 000000004E3C: D3AC6000 180355AE D3AD8C20 84826170
	s_sub_u32 s14, s14, s66                                    // 000000004E4C: 808E420E
	buffer_load_dwordx4 v[156:159], v192, s[16:19], 0 offen    // 000000004E50: E05C1000 80049CC0
	v_mfma_scale_f32_16x16x128_f8f6f4 a[36:39], v[112:115], v[52:55], a[36:39], v174, v170 op_sel_hi:[0,0,0] cbsz:4 blgp:4// 000000004E58: D3AC7000 180355AE D3AD8C24 84926970
	s_add_u32 s20, s20, s68                                    // 000000004E68: 80144414
	ds_read_b128 v[76:79], v184 offset:17408                   // 000000004E6C: D9FE4400 4C0000B8
	v_mfma_scale_f32_16x16x128_f8f6f4 a[40:43], v[116:119], v[48:51], a[40:43], v174, v170 op_sel_hi:[0,0,0] cbsz:4 blgp:4// 000000004E74: D3AC6800 180355AE D3AD8C28 84A26174
	s_addc_u32 s21, 0, s21                                     // 000000004E84: 82151580
	s_sub_u32 s22, s22, s68                                    // 000000004E88: 80964416
	v_mfma_scale_f32_16x16x128_f8f6f4 a[44:47], v[116:119], v[52:55], a[44:47], v174, v170 op_sel_hi:[0,0,0] cbsz:4 blgp:4// 000000004E8C: D3AC7800 180355AE D3AD8C2C 84B26974
	s_add_u32 s63, 0x400, s60                                  // 000000004E9C: 803F3CFF 00000400
	ds_read_b128 v[84:87], v184 offset:17472                   // 000000004EA4: D9FE4440 540000B8
	ds_read_b32 v172, v190 offset:1024                         // 000000004EAC: D86C0400 AC0000BE
	s_waitcnt lgkmcnt(5)                                       // 000000004EB4: BF8CC57F
	v_mfma_scale_f32_16x16x128_f8f6f4 a[48:51], v[104:107], v[56:59], a[48:51], v174, v171 op_sel_hi:[0,0,0] cbsz:4 blgp:4// 000000004EB8: D3AC6000 000357AE D3AD8C30 84C27168
	s_cmp_lt_u32 s63, s61                                      // 000000004EC8: BF0A3D3F
	buffer_load_dwordx4 v[160:163], v191, s[16:19], 0 offen offset:1024// 000000004ECC: E05C1400 8004A0BF
	v_mfma_scale_f32_16x16x128_f8f6f4 a[52:55], v[104:107], v[60:63], a[52:55], v174, v171 op_sel_hi:[0,0,0] cbsz:4 blgp:4// 000000004ED4: D3AC7000 000357AE D3AD8C34 84D27968
	s_cselect_b32 s67, s67, 0                                  // 000000004EE4: 85438043
	ds_read_b128 v[88:91], v184 offset:21120                   // 000000004EE8: D9FE5280 580000B8
	v_mfma_scale_f32_16x16x128_f8f6f4 a[56:59], v[108:111], v[56:59], a[56:59], v174, v171 op_sel_hi:[0,0,0] cbsz:4 blgp:4// 000000004EF0: D3AC6800 000357AE D3AD8C38 84E2716C
	s_cselect_b32 s69, s69, 0                                  // 000000004F00: 85458045
	v_mfma_scale_f32_16x16x128_f8f6f4 a[60:63], v[108:111], v[60:63], a[60:63], v174, v171 op_sel_hi:[0,0,0] cbsz:4 blgp:4// 000000004F04: D3AC7800 000357AE D3AD8C3C 84F2796C
	ds_read_b128 v[96:99], v184 offset:21184                   // 000000004F14: D9FE52C0 600000B8
	v_mfma_scale_f32_16x16x128_f8f6f4 a[48:51], v[112:115], v[64:67], a[48:51], v174, v171 op_sel_hi:[0,0,0] cbsz:4 blgp:4// 000000004F1C: D3AC6000 180357AE D3AD8C30 84C28170
	buffer_load_dwordx4 v[164:167], v192, s[16:19], 0 offen offset:1024// 000000004F2C: E05C1400 8004A4C0
	v_mfma_scale_f32_16x16x128_f8f6f4 a[52:55], v[112:115], v[68:71], a[52:55], v174, v171 op_sel_hi:[0,0,0] cbsz:4 blgp:4// 000000004F34: D3AC7000 180357AE D3AD8C34 84D28970
	ds_read_b128 v[92:95], v184 offset:21632                   // 000000004F44: D9FE5480 5C0000B8
	v_mfma_scale_f32_16x16x128_f8f6f4 a[56:59], v[116:119], v[64:67], a[56:59], v174, v171 op_sel_hi:[0,0,0] cbsz:4 blgp:4// 000000004F4C: D3AC6800 180357AE D3AD8C38 84E28174
	v_mfma_scale_f32_16x16x128_f8f6f4 a[60:63], v[116:119], v[68:71], a[60:63], v174, v171 op_sel_hi:[0,0,0] cbsz:4 blgp:4// 000000004F5C: D3AC7800 180357AE D3AD8C3C 84F28974
	ds_read_b128 v[100:103], v184 offset:21696                 // 000000004F6C: D9FE54C0 640000B8
	ds_read_b32 v173, v190 offset:1280                         // 000000004F74: D86C0500 AD0000BE
	s_waitcnt vmcnt(34) lgkmcnt(5)                             // 000000004F7C: BF8C8572
	s_barrier                                                  // 000000004F80: BF8A0000
	v_mfma_scale_f32_16x16x128_f8f6f4 a[64:67], v[104:107], v[72:75], a[64:67], v174, v172 op_sel_hi:[0,0,0] cbsz:4 blgp:4// 000000004F84: D3AC6000 000359AE D3AD8C40 85029168
	buffer_load_dword v177, v193, s[24:27], 0 offen            // 000000004F94: E0501000 8006B1C1
	v_mfma_scale_f32_16x16x128_f8f6f4 a[68:71], v[104:107], v[76:79], a[68:71], v174, v172 op_sel_hi:[0,0,0] cbsz:4 blgp:4// 000000004F9C: D3AC7000 000359AE D3AD8C44 85129968
	s_add_u32 s16, s16, s67                                    // 000000004FAC: 80104310
	ds_read_b128 v[8:11], v185                                 // 000000004FB0: D9FE0000 080000B9
	v_mfma_scale_f32_16x16x128_f8f6f4 a[72:75], v[108:111], v[72:75], a[72:75], v174, v172 op_sel_hi:[0,0,0] cbsz:4 blgp:4// 000000004FB8: D3AC6800 000359AE D3AD8C48 8522916C
	s_addc_u32 s17, 0, s17                                     // 000000004FC8: 82111180
	s_sub_u32 s18, s18, s67                                    // 000000004FCC: 80924312
	v_mfma_scale_f32_16x16x128_f8f6f4 a[76:79], v[108:111], v[76:79], a[76:79], v174, v172 op_sel_hi:[0,0,0] cbsz:4 blgp:4// 000000004FD0: D3AC7800 000359AE D3AD8C4C 8532996C
	s_add_u32 s24, s24, s69                                    // 000000004FE0: 80184518
	ds_read_b128 v[16:19], v185 offset:64                      // 000000004FE4: D9FE0040 100000B9
	v_mfma_scale_f32_16x16x128_f8f6f4 a[64:67], v[112:115], v[80:83], a[64:67], v174, v172 op_sel_hi:[0,0,0] cbsz:4 blgp:4// 000000004FEC: D3AC6000 180359AE D3AD8C40 8502A170
	s_addc_u32 s25, 0, s25                                     // 000000004FFC: 82191980
	s_sub_u32 s26, s26, s69                                    // 000000005000: 809A451A
	v_mfma_scale_f32_16x16x128_f8f6f4 a[68:71], v[112:115], v[84:87], a[68:71], v174, v172 op_sel_hi:[0,0,0] cbsz:4 blgp:4// 000000005004: D3AC7000 180359AE D3AD8C44 8512A970
	s_addk_i32 s60, 0x100                                      // 000000005014: B73C0100
	ds_read_b128 v[12:15], v185 offset:512                     // 000000005018: D9FE0200 0C0000B9
	v_mfma_scale_f32_16x16x128_f8f6f4 a[72:75], v[116:119], v[80:83], a[72:75], v174, v172 op_sel_hi:[0,0,0] cbsz:4 blgp:4// 000000005020: D3AC6800 180359AE D3AD8C48 8522A174
	s_cmp_lt_i32 s60, s61                                      // 000000005030: BF043D3C
	v_mfma_scale_f32_16x16x128_f8f6f4 a[76:79], v[116:119], v[84:87], a[76:79], v174, v172 op_sel_hi:[0,0,0] cbsz:4 blgp:4// 000000005034: D3AC7800 180359AE D3AD8C4C 8532A974
	ds_read_b128 v[20:23], v185 offset:576                     // 000000005044: D9FE0240 140000B9
	ds_read_b32 v168, v190 offset:2048                         // 00000000504C: D86C0800 A80000BE
	s_waitcnt lgkmcnt(5)                                       // 000000005054: BF8CC57F
	v_mfma_scale_f32_16x16x128_f8f6f4 a[80:83], v[104:107], v[88:91], a[80:83], v174, v173 op_sel_hi:[0,0,0] cbsz:4 blgp:4// 000000005058: D3AC6000 00035BAE D3AD8C50 8542B168
	v_mfma_scale_f32_16x16x128_f8f6f4 a[84:87], v[104:107], v[92:95], a[84:87], v174, v173 op_sel_hi:[0,0,0] cbsz:4 blgp:4// 000000005068: D3AC7000 00035BAE D3AD8C54 8552B968
	ds_read_b128 v[24:27], v185 offset:4224                    // 000000005078: D9FE1080 180000B9
	v_mfma_scale_f32_16x16x128_f8f6f4 a[88:91], v[108:111], v[88:91], a[88:91], v174, v173 op_sel_hi:[0,0,0] cbsz:4 blgp:4// 000000005080: D3AC6800 00035BAE D3AD8C58 8562B16C
	v_mfma_scale_f32_16x16x128_f8f6f4 a[92:95], v[108:111], v[92:95], a[92:95], v174, v173 op_sel_hi:[0,0,0] cbsz:4 blgp:4// 000000005090: D3AC7800 00035BAE D3AD8C5C 8572B96C
	ds_read_b128 v[32:35], v185 offset:4288                    // 0000000050A0: D9FE10C0 200000B9
	v_mfma_scale_f32_16x16x128_f8f6f4 a[80:83], v[112:115], v[96:99], a[80:83], v174, v173 op_sel_hi:[0,0,0] cbsz:4 blgp:4// 0000000050A8: D3AC6000 18035BAE D3AD8C50 8542C170
	v_mfma_scale_f32_16x16x128_f8f6f4 a[84:87], v[112:115], v[100:103], a[84:87], v174, v173 op_sel_hi:[0,0,0] cbsz:4 blgp:4// 0000000050B8: D3AC7000 18035BAE D3AD8C54 8552C970
	ds_read_b128 v[28:31], v185 offset:4736                    // 0000000050C8: D9FE1280 1C0000B9
	v_mfma_scale_f32_16x16x128_f8f6f4 a[88:91], v[116:119], v[96:99], a[88:91], v174, v173 op_sel_hi:[0,0,0] cbsz:4 blgp:4// 0000000050D0: D3AC6800 18035BAE D3AD8C58 8562C174
	v_mfma_scale_f32_16x16x128_f8f6f4 a[92:95], v[116:119], v[100:103], a[92:95], v174, v173 op_sel_hi:[0,0,0] cbsz:4 blgp:4// 0000000050E0: D3AC7800 18035BAE D3AD8C5C 8572C974
	ds_read_b128 v[36:39], v185 offset:4800                    // 0000000050F0: D9FE12C0 240000B9
	ds_read_b32 v169, v190 offset:2304                         // 0000000050F8: D86C0900 A90000BE
	s_cbranch_scc0 label_0D15                                  // 000000005100: BF8403D4
	s_waitcnt vmcnt(26) lgkmcnt(5)                             // 000000005104: BF8C457A
	s_barrier                                                  // 000000005108: BF8A0000
	v_mfma_scale_f32_16x16x128_f8f6f4 a[0:3], v[120:123], v[8:11], a[0:3], v175, v168 op_sel_hi:[0,0,0] cbsz:4 blgp:4// 00000000510C: D3AC6000 000351AF D3AD8C00 84021178
	s_add_u32 m0, 0, s65                                       // 00000000511C: 807C4180
	buffer_load_dword v188, s[20:23], 0 offen lds              // 000000005120: E0511000 800500BC
	v_mfma_scale_f32_16x16x128_f8f6f4 a[4:7], v[120:123], v[12:15], a[4:7], v175, v168 op_sel_hi:[0,0,0] cbsz:4 blgp:4// 000000005128: D3AC7000 000351AF D3AD8C04 84121978
	ds_read_b128 v[40:43], v185 offset:8448                    // 000000005138: D9FE2100 280000B9
	v_mfma_scale_f32_16x16x128_f8f6f4 a[8:11], v[124:127], v[8:11], a[8:11], v175, v168 op_sel_hi:[0,0,0] cbsz:4 blgp:4// 000000005140: D3AC6800 000351AF D3AD8C08 8422117C
	s_add_u32 m0, 0x400, s65                                   // 000000005150: 807C41FF 00000400
	buffer_load_dword v189, s[20:23], 0 offen lds              // 000000005158: E0511000 800500BD
	v_mfma_scale_f32_16x16x128_f8f6f4 a[12:15], v[124:127], v[12:15], a[12:15], v175, v168 op_sel_hi:[0,0,0] cbsz:4 blgp:4// 000000005160: D3AC7800 000351AF D3AD8C0C 8432197C
	ds_read_b128 v[48:51], v185 offset:8512                    // 000000005170: D9FE2140 300000B9
	v_mfma_scale_f32_16x16x128_f8f6f4 a[0:3], v[128:131], v[16:19], a[0:3], v175, v168 op_sel_hi:[0,0,0] cbsz:4 blgp:4// 000000005178: D3AC6000 180351AF D3AD8C00 84022180
	s_add_u32 m0, 0, s64                                       // 000000005188: 807C4080
	buffer_load_dwordx4 v178, s[12:15], 0 offen lds            // 00000000518C: E05D1000 800300B2
	v_mfma_scale_f32_16x16x128_f8f6f4 a[4:7], v[128:131], v[20:23], a[4:7], v175, v168 op_sel_hi:[0,0,0] cbsz:4 blgp:4// 000000005194: D3AC7000 180351AF D3AD8C04 84122980
	ds_read_b128 v[44:47], v185 offset:8960                    // 0000000051A4: D9FE2300 2C0000B9
	v_mfma_scale_f32_16x16x128_f8f6f4 a[8:11], v[132:135], v[16:19], a[8:11], v175, v168 op_sel_hi:[0,0,0] cbsz:4 blgp:4// 0000000051AC: D3AC6800 180351AF D3AD8C08 84222184
	s_add_u32 m0, 0x1080, s64                                  // 0000000051BC: 807C40FF 00001080
	buffer_load_dwordx4 v179, s[12:15], 0 offen lds            // 0000000051C4: E05D1000 800300B3
	v_mfma_scale_f32_16x16x128_f8f6f4 a[12:15], v[132:135], v[20:23], a[12:15], v175, v168 op_sel_hi:[0,0,0] cbsz:4 blgp:4// 0000000051CC: D3AC7800 180351AF D3AD8C0C 84322984
	ds_read_b128 v[52:55], v185 offset:9024                    // 0000000051DC: D9FE2340 340000B9
	ds_read_b32 v170, v190 offset:2560                         // 0000000051E4: D86C0A00 AA0000BE
	s_waitcnt lgkmcnt(5)                                       // 0000000051EC: BF8CC57F
	v_mfma_scale_f32_16x16x128_f8f6f4 a[16:19], v[120:123], v[24:27], a[16:19], v175, v169 op_sel_hi:[0,0,0] cbsz:4 blgp:4// 0000000051F0: D3AC6000 000353AF D3AD8C10 84423178
	s_add_u32 m0, 0x2100, s64                                  // 000000005200: 807C40FF 00002100
	buffer_load_dwordx4 v180, s[12:15], 0 offen lds            // 000000005208: E05D1000 800300B4
	v_mfma_scale_f32_16x16x128_f8f6f4 a[20:23], v[120:123], v[28:31], a[20:23], v175, v169 op_sel_hi:[0,0,0] cbsz:4 blgp:4// 000000005210: D3AC7000 000353AF D3AD8C14 84523978
	ds_read_b128 v[56:59], v185 offset:12672                   // 000000005220: D9FE3180 380000B9
	v_mfma_scale_f32_16x16x128_f8f6f4 a[24:27], v[124:127], v[24:27], a[24:27], v175, v169 op_sel_hi:[0,0,0] cbsz:4 blgp:4// 000000005228: D3AC6800 000353AF D3AD8C18 8462317C
	s_add_u32 m0, 0x3180, s64                                  // 000000005238: 807C40FF 00003180
	buffer_load_dwordx4 v181, s[12:15], 0 offen lds            // 000000005240: E05D1000 800300B5
	v_mfma_scale_f32_16x16x128_f8f6f4 a[28:31], v[124:127], v[28:31], a[28:31], v175, v169 op_sel_hi:[0,0,0] cbsz:4 blgp:4// 000000005248: D3AC7800 000353AF D3AD8C1C 8472397C
	ds_read_b128 v[64:67], v185 offset:12736                   // 000000005258: D9FE31C0 400000B9
	v_mfma_scale_f32_16x16x128_f8f6f4 a[16:19], v[128:131], v[32:35], a[16:19], v175, v169 op_sel_hi:[0,0,0] cbsz:4 blgp:4// 000000005260: D3AC6000 180353AF D3AD8C10 84424180
	s_add_u32 m0, 0x4200, s64                                  // 000000005270: 807C40FF 00004200
	buffer_load_dwordx4 v182, s[12:15], 0 offen lds            // 000000005278: E05D1000 800300B6
	v_mfma_scale_f32_16x16x128_f8f6f4 a[20:23], v[128:131], v[36:39], a[20:23], v175, v169 op_sel_hi:[0,0,0] cbsz:4 blgp:4// 000000005280: D3AC7000 180353AF D3AD8C14 84524980
	ds_read_b128 v[60:63], v185 offset:13184                   // 000000005290: D9FE3380 3C0000B9
	v_mfma_scale_f32_16x16x128_f8f6f4 a[24:27], v[132:135], v[32:35], a[24:27], v175, v169 op_sel_hi:[0,0,0] cbsz:4 blgp:4// 000000005298: D3AC6800 180353AF D3AD8C18 84624184
	s_add_u32 m0, 0x5280, s64                                  // 0000000052A8: 807C40FF 00005280
	buffer_load_dwordx4 v183, s[12:15], 0 offen lds            // 0000000052B0: E05D1000 800300B7
	v_mfma_scale_f32_16x16x128_f8f6f4 a[28:31], v[132:135], v[36:39], a[28:31], v175, v169 op_sel_hi:[0,0,0] cbsz:4 blgp:4// 0000000052B8: D3AC7800 180353AF D3AD8C1C 84724984
	s_add_u32 s62, 0x400, s60                                  // 0000000052C8: 803E3CFF 00000400
	ds_read_b128 v[68:71], v185 offset:13248                   // 0000000052D0: D9FE33C0 440000B9
	ds_read_b32 v171, v190 offset:2816                         // 0000000052D8: D86C0B00 AB0000BE
	s_waitcnt lgkmcnt(5)                                       // 0000000052E0: BF8CC57F
	v_mfma_scale_f32_16x16x128_f8f6f4 a[32:35], v[120:123], v[40:43], a[32:35], v175, v170 op_sel_hi:[0,0,0] cbsz:4 blgp:4// 0000000052E4: D3AC6000 000355AF D3AD8C20 84825178
	s_cmp_lt_u32 s62, s61                                      // 0000000052F4: BF0A3D3E
	buffer_load_dwordx4 v[104:107], v191, s[16:19], 0 offen    // 0000000052F8: E05C1000 800468BF
	v_mfma_scale_f32_16x16x128_f8f6f4 a[36:39], v[120:123], v[44:47], a[36:39], v175, v170 op_sel_hi:[0,0,0] cbsz:4 blgp:4// 000000005300: D3AC7000 000355AF D3AD8C24 84925978
	s_cselect_b32 s66, s66, 0                                  // 000000005310: 85428042
	ds_read_b128 v[72:75], v185 offset:16896                   // 000000005314: D9FE4200 480000B9
	v_mfma_scale_f32_16x16x128_f8f6f4 a[40:43], v[124:127], v[40:43], a[40:43], v175, v170 op_sel_hi:[0,0,0] cbsz:4 blgp:4// 00000000531C: D3AC6800 000355AF D3AD8C28 84A2517C
	s_cselect_b32 s68, s68, 0                                  // 00000000532C: 85448044
	s_add_u32 s12, s12, s66                                    // 000000005330: 800C420C
	v_mfma_scale_f32_16x16x128_f8f6f4 a[44:47], v[124:127], v[44:47], a[44:47], v175, v170 op_sel_hi:[0,0,0] cbsz:4 blgp:4// 000000005334: D3AC7800 000355AF D3AD8C2C 84B2597C
	s_addc_u32 s13, 0, s13                                     // 000000005344: 820D0D80
	ds_read_b128 v[80:83], v185 offset:16960                   // 000000005348: D9FE4240 500000B9
	v_mfma_scale_f32_16x16x128_f8f6f4 a[32:35], v[128:131], v[48:51], a[32:35], v175, v170 op_sel_hi:[0,0,0] cbsz:4 blgp:4// 000000005350: D3AC6000 180355AF D3AD8C20 84826180
	s_sub_u32 s14, s14, s66                                    // 000000005360: 808E420E
	buffer_load_dwordx4 v[108:111], v192, s[16:19], 0 offen    // 000000005364: E05C1000 80046CC0
	v_mfma_scale_f32_16x16x128_f8f6f4 a[36:39], v[128:131], v[52:55], a[36:39], v175, v170 op_sel_hi:[0,0,0] cbsz:4 blgp:4// 00000000536C: D3AC7000 180355AF D3AD8C24 84926980
	s_add_u32 s20, s20, s68                                    // 00000000537C: 80144414
	ds_read_b128 v[76:79], v185 offset:17408                   // 000000005380: D9FE4400 4C0000B9
	v_mfma_scale_f32_16x16x128_f8f6f4 a[40:43], v[132:135], v[48:51], a[40:43], v175, v170 op_sel_hi:[0,0,0] cbsz:4 blgp:4// 000000005388: D3AC6800 180355AF D3AD8C28 84A26184
	s_addc_u32 s21, 0, s21                                     // 000000005398: 82151580
	s_sub_u32 s22, s22, s68                                    // 00000000539C: 80964416
	v_mfma_scale_f32_16x16x128_f8f6f4 a[44:47], v[132:135], v[52:55], a[44:47], v175, v170 op_sel_hi:[0,0,0] cbsz:4 blgp:4// 0000000053A0: D3AC7800 180355AF D3AD8C2C 84B26984
	s_add_u32 s63, 0x400, s60                                  // 0000000053B0: 803F3CFF 00000400
	ds_read_b128 v[84:87], v185 offset:17472                   // 0000000053B8: D9FE4440 540000B9
	ds_read_b32 v172, v190 offset:3072                         // 0000000053C0: D86C0C00 AC0000BE
	s_waitcnt lgkmcnt(5)                                       // 0000000053C8: BF8CC57F
	v_mfma_scale_f32_16x16x128_f8f6f4 a[48:51], v[120:123], v[56:59], a[48:51], v175, v171 op_sel_hi:[0,0,0] cbsz:4 blgp:4// 0000000053CC: D3AC6000 000357AF D3AD8C30 84C27178
	s_cmp_lt_u32 s63, s61                                      // 0000000053DC: BF0A3D3F
	buffer_load_dwordx4 v[112:115], v191, s[16:19], 0 offen offset:1024// 0000000053E0: E05C1400 800470BF
	v_mfma_scale_f32_16x16x128_f8f6f4 a[52:55], v[120:123], v[60:63], a[52:55], v175, v171 op_sel_hi:[0,0,0] cbsz:4 blgp:4// 0000000053E8: D3AC7000 000357AF D3AD8C34 84D27978
	s_cselect_b32 s67, s67, 0                                  // 0000000053F8: 85438043
	ds_read_b128 v[88:91], v185 offset:21120                   // 0000000053FC: D9FE5280 580000B9
	v_mfma_scale_f32_16x16x128_f8f6f4 a[56:59], v[124:127], v[56:59], a[56:59], v175, v171 op_sel_hi:[0,0,0] cbsz:4 blgp:4// 000000005404: D3AC6800 000357AF D3AD8C38 84E2717C
	s_cselect_b32 s69, s69, 0                                  // 000000005414: 85458045
	v_mfma_scale_f32_16x16x128_f8f6f4 a[60:63], v[124:127], v[60:63], a[60:63], v175, v171 op_sel_hi:[0,0,0] cbsz:4 blgp:4// 000000005418: D3AC7800 000357AF D3AD8C3C 84F2797C
	ds_read_b128 v[96:99], v185 offset:21184                   // 000000005428: D9FE52C0 600000B9
	v_mfma_scale_f32_16x16x128_f8f6f4 a[48:51], v[128:131], v[64:67], a[48:51], v175, v171 op_sel_hi:[0,0,0] cbsz:4 blgp:4// 000000005430: D3AC6000 180357AF D3AD8C30 84C28180
	buffer_load_dwordx4 v[116:119], v192, s[16:19], 0 offen offset:1024// 000000005440: E05C1400 800474C0
	v_mfma_scale_f32_16x16x128_f8f6f4 a[52:55], v[128:131], v[68:71], a[52:55], v175, v171 op_sel_hi:[0,0,0] cbsz:4 blgp:4// 000000005448: D3AC7000 180357AF D3AD8C34 84D28980
	ds_read_b128 v[92:95], v185 offset:21632                   // 000000005458: D9FE5480 5C0000B9
	v_mfma_scale_f32_16x16x128_f8f6f4 a[56:59], v[132:135], v[64:67], a[56:59], v175, v171 op_sel_hi:[0,0,0] cbsz:4 blgp:4// 000000005460: D3AC6800 180357AF D3AD8C38 84E28184
	v_mfma_scale_f32_16x16x128_f8f6f4 a[60:63], v[132:135], v[68:71], a[60:63], v175, v171 op_sel_hi:[0,0,0] cbsz:4 blgp:4// 000000005470: D3AC7800 180357AF D3AD8C3C 84F28984
	ds_read_b128 v[100:103], v185 offset:21696                 // 000000005480: D9FE54C0 640000B9
	ds_read_b32 v173, v190 offset:3328                         // 000000005488: D86C0D00 AD0000BE
	s_waitcnt vmcnt(34) lgkmcnt(5)                             // 000000005490: BF8C8572
	s_barrier                                                  // 000000005494: BF8A0000
	v_mfma_scale_f32_16x16x128_f8f6f4 a[64:67], v[120:123], v[72:75], a[64:67], v175, v172 op_sel_hi:[0,0,0] cbsz:4 blgp:4// 000000005498: D3AC6000 000359AF D3AD8C40 85029178
	buffer_load_dword v174, v193, s[24:27], 0 offen            // 0000000054A8: E0501000 8006AEC1
	v_mfma_scale_f32_16x16x128_f8f6f4 a[68:71], v[120:123], v[76:79], a[68:71], v175, v172 op_sel_hi:[0,0,0] cbsz:4 blgp:4// 0000000054B0: D3AC7000 000359AF D3AD8C44 85129978
	s_add_u32 s16, s16, s67                                    // 0000000054C0: 80104310
	ds_read_b128 v[8:11], v186                                 // 0000000054C4: D9FE0000 080000BA
	v_mfma_scale_f32_16x16x128_f8f6f4 a[72:75], v[124:127], v[72:75], a[72:75], v175, v172 op_sel_hi:[0,0,0] cbsz:4 blgp:4// 0000000054CC: D3AC6800 000359AF D3AD8C48 8522917C
	s_addc_u32 s17, 0, s17                                     // 0000000054DC: 82111180
	s_sub_u32 s18, s18, s67                                    // 0000000054E0: 80924312
	v_mfma_scale_f32_16x16x128_f8f6f4 a[76:79], v[124:127], v[76:79], a[76:79], v175, v172 op_sel_hi:[0,0,0] cbsz:4 blgp:4// 0000000054E4: D3AC7800 000359AF D3AD8C4C 8532997C
	s_add_u32 s24, s24, s69                                    // 0000000054F4: 80184518
	ds_read_b128 v[16:19], v186 offset:64                      // 0000000054F8: D9FE0040 100000BA
	v_mfma_scale_f32_16x16x128_f8f6f4 a[64:67], v[128:131], v[80:83], a[64:67], v175, v172 op_sel_hi:[0,0,0] cbsz:4 blgp:4// 000000005500: D3AC6000 180359AF D3AD8C40 8502A180
	s_addc_u32 s25, 0, s25                                     // 000000005510: 82191980
	s_sub_u32 s26, s26, s69                                    // 000000005514: 809A451A
	v_mfma_scale_f32_16x16x128_f8f6f4 a[68:71], v[128:131], v[84:87], a[68:71], v175, v172 op_sel_hi:[0,0,0] cbsz:4 blgp:4// 000000005518: D3AC7000 180359AF D3AD8C44 8512A980
	s_addk_i32 s60, 0x100                                      // 000000005528: B73C0100
	ds_read_b128 v[12:15], v186 offset:512                     // 00000000552C: D9FE0200 0C0000BA
	v_mfma_scale_f32_16x16x128_f8f6f4 a[72:75], v[132:135], v[80:83], a[72:75], v175, v172 op_sel_hi:[0,0,0] cbsz:4 blgp:4// 000000005534: D3AC6800 180359AF D3AD8C48 8522A184
	s_cmp_lt_i32 s60, s61                                      // 000000005544: BF043D3C
	v_mfma_scale_f32_16x16x128_f8f6f4 a[76:79], v[132:135], v[84:87], a[76:79], v175, v172 op_sel_hi:[0,0,0] cbsz:4 blgp:4// 000000005548: D3AC7800 180359AF D3AD8C4C 8532A984
	ds_read_b128 v[20:23], v186 offset:576                     // 000000005558: D9FE0240 140000BA
	ds_read_b32 v168, v190 offset:4096                         // 000000005560: D86C1000 A80000BE
	s_waitcnt lgkmcnt(5)                                       // 000000005568: BF8CC57F
	v_mfma_scale_f32_16x16x128_f8f6f4 a[80:83], v[120:123], v[88:91], a[80:83], v175, v173 op_sel_hi:[0,0,0] cbsz:4 blgp:4// 00000000556C: D3AC6000 00035BAF D3AD8C50 8542B178
	v_mfma_scale_f32_16x16x128_f8f6f4 a[84:87], v[120:123], v[92:95], a[84:87], v175, v173 op_sel_hi:[0,0,0] cbsz:4 blgp:4// 00000000557C: D3AC7000 00035BAF D3AD8C54 8552B978
	ds_read_b128 v[24:27], v186 offset:4224                    // 00000000558C: D9FE1080 180000BA
	v_mfma_scale_f32_16x16x128_f8f6f4 a[88:91], v[124:127], v[88:91], a[88:91], v175, v173 op_sel_hi:[0,0,0] cbsz:4 blgp:4// 000000005594: D3AC6800 00035BAF D3AD8C58 8562B17C
	v_mfma_scale_f32_16x16x128_f8f6f4 a[92:95], v[124:127], v[92:95], a[92:95], v175, v173 op_sel_hi:[0,0,0] cbsz:4 blgp:4// 0000000055A4: D3AC7800 00035BAF D3AD8C5C 8572B97C
	ds_read_b128 v[32:35], v186 offset:4288                    // 0000000055B4: D9FE10C0 200000BA
	v_mfma_scale_f32_16x16x128_f8f6f4 a[80:83], v[128:131], v[96:99], a[80:83], v175, v173 op_sel_hi:[0,0,0] cbsz:4 blgp:4// 0000000055BC: D3AC6000 18035BAF D3AD8C50 8542C180
	v_mfma_scale_f32_16x16x128_f8f6f4 a[84:87], v[128:131], v[100:103], a[84:87], v175, v173 op_sel_hi:[0,0,0] cbsz:4 blgp:4// 0000000055CC: D3AC7000 18035BAF D3AD8C54 8552C980
	ds_read_b128 v[28:31], v186 offset:4736                    // 0000000055DC: D9FE1280 1C0000BA
	v_mfma_scale_f32_16x16x128_f8f6f4 a[88:91], v[132:135], v[96:99], a[88:91], v175, v173 op_sel_hi:[0,0,0] cbsz:4 blgp:4// 0000000055E4: D3AC6800 18035BAF D3AD8C58 8562C184
	v_mfma_scale_f32_16x16x128_f8f6f4 a[92:95], v[132:135], v[100:103], a[92:95], v175, v173 op_sel_hi:[0,0,0] cbsz:4 blgp:4// 0000000055F4: D3AC7800 18035BAF D3AD8C5C 8572C984
	ds_read_b128 v[36:39], v186 offset:4800                    // 000000005604: D9FE12C0 240000BA
	ds_read_b32 v169, v190 offset:4352                         // 00000000560C: D86C1100 A90000BE
	s_cbranch_scc0 label_0D15                                  // 000000005614: BF84028F
	s_waitcnt vmcnt(26) lgkmcnt(5)                             // 000000005618: BF8C457A
	s_barrier                                                  // 00000000561C: BF8A0000
	v_mfma_scale_f32_16x16x128_f8f6f4 a[0:3], v[136:139], v[8:11], a[0:3], v176, v168 op_sel_hi:[0,0,0] cbsz:4 blgp:4// 000000005620: D3AC6000 000351B0 D3AD8C00 84021188
	s_add_u32 m0, 0x800, s65                                   // 000000005630: 807C41FF 00000800
	buffer_load_dword v188, s[20:23], 0 offen lds              // 000000005638: E0511000 800500BC
	v_mfma_scale_f32_16x16x128_f8f6f4 a[4:7], v[136:139], v[12:15], a[4:7], v176, v168 op_sel_hi:[0,0,0] cbsz:4 blgp:4// 000000005640: D3AC7000 000351B0 D3AD8C04 84121988
	ds_read_b128 v[40:43], v186 offset:8448                    // 000000005650: D9FE2100 280000BA
	v_mfma_scale_f32_16x16x128_f8f6f4 a[8:11], v[140:143], v[8:11], a[8:11], v176, v168 op_sel_hi:[0,0,0] cbsz:4 blgp:4// 000000005658: D3AC6800 000351B0 D3AD8C08 8422118C
	s_add_u32 m0, 0xc00, s65                                   // 000000005668: 807C41FF 00000C00
	buffer_load_dword v189, s[20:23], 0 offen lds              // 000000005670: E0511000 800500BD
	v_mfma_scale_f32_16x16x128_f8f6f4 a[12:15], v[140:143], v[12:15], a[12:15], v176, v168 op_sel_hi:[0,0,0] cbsz:4 blgp:4// 000000005678: D3AC7800 000351B0 D3AD8C0C 8432198C
	ds_read_b128 v[48:51], v186 offset:8512                    // 000000005688: D9FE2140 300000BA
	v_mfma_scale_f32_16x16x128_f8f6f4 a[0:3], v[144:147], v[16:19], a[0:3], v176, v168 op_sel_hi:[0,0,0] cbsz:4 blgp:4// 000000005690: D3AC6000 180351B0 D3AD8C00 84022190
	s_add_u32 m0, 0x6300, s64                                  // 0000000056A0: 807C40FF 00006300
	buffer_load_dwordx4 v178, s[12:15], 0 offen lds            // 0000000056A8: E05D1000 800300B2
	v_mfma_scale_f32_16x16x128_f8f6f4 a[4:7], v[144:147], v[20:23], a[4:7], v176, v168 op_sel_hi:[0,0,0] cbsz:4 blgp:4// 0000000056B0: D3AC7000 180351B0 D3AD8C04 84122990
	ds_read_b128 v[44:47], v186 offset:8960                    // 0000000056C0: D9FE2300 2C0000BA
	v_mfma_scale_f32_16x16x128_f8f6f4 a[8:11], v[148:151], v[16:19], a[8:11], v176, v168 op_sel_hi:[0,0,0] cbsz:4 blgp:4// 0000000056C8: D3AC6800 180351B0 D3AD8C08 84222194
	s_add_u32 m0, 0x7380, s64                                  // 0000000056D8: 807C40FF 00007380
	buffer_load_dwordx4 v179, s[12:15], 0 offen lds            // 0000000056E0: E05D1000 800300B3
	v_mfma_scale_f32_16x16x128_f8f6f4 a[12:15], v[148:151], v[20:23], a[12:15], v176, v168 op_sel_hi:[0,0,0] cbsz:4 blgp:4// 0000000056E8: D3AC7800 180351B0 D3AD8C0C 84322994
	ds_read_b128 v[52:55], v186 offset:9024                    // 0000000056F8: D9FE2340 340000BA
	ds_read_b32 v170, v190 offset:4608                         // 000000005700: D86C1200 AA0000BE
	s_waitcnt lgkmcnt(5)                                       // 000000005708: BF8CC57F
	v_mfma_scale_f32_16x16x128_f8f6f4 a[16:19], v[136:139], v[24:27], a[16:19], v176, v169 op_sel_hi:[0,0,0] cbsz:4 blgp:4// 00000000570C: D3AC6000 000353B0 D3AD8C10 84423188
	s_add_u32 m0, 0x8400, s64                                  // 00000000571C: 807C40FF 00008400
	buffer_load_dwordx4 v180, s[12:15], 0 offen lds            // 000000005724: E05D1000 800300B4
	v_mfma_scale_f32_16x16x128_f8f6f4 a[20:23], v[136:139], v[28:31], a[20:23], v176, v169 op_sel_hi:[0,0,0] cbsz:4 blgp:4// 00000000572C: D3AC7000 000353B0 D3AD8C14 84523988
	ds_read_b128 v[56:59], v186 offset:12672                   // 00000000573C: D9FE3180 380000BA
	v_mfma_scale_f32_16x16x128_f8f6f4 a[24:27], v[140:143], v[24:27], a[24:27], v176, v169 op_sel_hi:[0,0,0] cbsz:4 blgp:4// 000000005744: D3AC6800 000353B0 D3AD8C18 8462318C
	s_add_u32 m0, 0x9480, s64                                  // 000000005754: 807C40FF 00009480
	buffer_load_dwordx4 v181, s[12:15], 0 offen lds            // 00000000575C: E05D1000 800300B5
	v_mfma_scale_f32_16x16x128_f8f6f4 a[28:31], v[140:143], v[28:31], a[28:31], v176, v169 op_sel_hi:[0,0,0] cbsz:4 blgp:4// 000000005764: D3AC7800 000353B0 D3AD8C1C 8472398C
	ds_read_b128 v[64:67], v186 offset:12736                   // 000000005774: D9FE31C0 400000BA
	v_mfma_scale_f32_16x16x128_f8f6f4 a[16:19], v[144:147], v[32:35], a[16:19], v176, v169 op_sel_hi:[0,0,0] cbsz:4 blgp:4// 00000000577C: D3AC6000 180353B0 D3AD8C10 84424190
	s_add_u32 m0, 0xa500, s64                                  // 00000000578C: 807C40FF 0000A500
	buffer_load_dwordx4 v182, s[12:15], 0 offen lds            // 000000005794: E05D1000 800300B6
	v_mfma_scale_f32_16x16x128_f8f6f4 a[20:23], v[144:147], v[36:39], a[20:23], v176, v169 op_sel_hi:[0,0,0] cbsz:4 blgp:4// 00000000579C: D3AC7000 180353B0 D3AD8C14 84524990
	ds_read_b128 v[60:63], v186 offset:13184                   // 0000000057AC: D9FE3380 3C0000BA
	v_mfma_scale_f32_16x16x128_f8f6f4 a[24:27], v[148:151], v[32:35], a[24:27], v176, v169 op_sel_hi:[0,0,0] cbsz:4 blgp:4// 0000000057B4: D3AC6800 180353B0 D3AD8C18 84624194
	s_add_u32 m0, 0xb580, s64                                  // 0000000057C4: 807C40FF 0000B580
	buffer_load_dwordx4 v183, s[12:15], 0 offen lds            // 0000000057CC: E05D1000 800300B7
	v_mfma_scale_f32_16x16x128_f8f6f4 a[28:31], v[148:151], v[36:39], a[28:31], v176, v169 op_sel_hi:[0,0,0] cbsz:4 blgp:4// 0000000057D4: D3AC7800 180353B0 D3AD8C1C 84724994
	s_add_u32 s62, 0x400, s60                                  // 0000000057E4: 803E3CFF 00000400
	ds_read_b128 v[68:71], v186 offset:13248                   // 0000000057EC: D9FE33C0 440000BA
	ds_read_b32 v171, v190 offset:4864                         // 0000000057F4: D86C1300 AB0000BE
	s_waitcnt lgkmcnt(5)                                       // 0000000057FC: BF8CC57F
	v_mfma_scale_f32_16x16x128_f8f6f4 a[32:35], v[136:139], v[40:43], a[32:35], v176, v170 op_sel_hi:[0,0,0] cbsz:4 blgp:4// 000000005800: D3AC6000 000355B0 D3AD8C20 84825188
	s_cmp_lt_u32 s62, s61                                      // 000000005810: BF0A3D3E
	buffer_load_dwordx4 v[120:123], v191, s[16:19], 0 offen    // 000000005814: E05C1000 800478BF
	v_mfma_scale_f32_16x16x128_f8f6f4 a[36:39], v[136:139], v[44:47], a[36:39], v176, v170 op_sel_hi:[0,0,0] cbsz:4 blgp:4// 00000000581C: D3AC7000 000355B0 D3AD8C24 84925988
	s_cselect_b32 s66, s66, 0                                  // 00000000582C: 85428042
	ds_read_b128 v[72:75], v186 offset:16896                   // 000000005830: D9FE4200 480000BA
	v_mfma_scale_f32_16x16x128_f8f6f4 a[40:43], v[140:143], v[40:43], a[40:43], v176, v170 op_sel_hi:[0,0,0] cbsz:4 blgp:4// 000000005838: D3AC6800 000355B0 D3AD8C28 84A2518C
	s_cselect_b32 s68, s68, 0                                  // 000000005848: 85448044
	s_add_u32 s12, s12, s66                                    // 00000000584C: 800C420C
	v_mfma_scale_f32_16x16x128_f8f6f4 a[44:47], v[140:143], v[44:47], a[44:47], v176, v170 op_sel_hi:[0,0,0] cbsz:4 blgp:4// 000000005850: D3AC7800 000355B0 D3AD8C2C 84B2598C
	s_addc_u32 s13, 0, s13                                     // 000000005860: 820D0D80
	ds_read_b128 v[80:83], v186 offset:16960                   // 000000005864: D9FE4240 500000BA
	v_mfma_scale_f32_16x16x128_f8f6f4 a[32:35], v[144:147], v[48:51], a[32:35], v176, v170 op_sel_hi:[0,0,0] cbsz:4 blgp:4// 00000000586C: D3AC6000 180355B0 D3AD8C20 84826190
	s_sub_u32 s14, s14, s66                                    // 00000000587C: 808E420E
	buffer_load_dwordx4 v[124:127], v192, s[16:19], 0 offen    // 000000005880: E05C1000 80047CC0
	v_mfma_scale_f32_16x16x128_f8f6f4 a[36:39], v[144:147], v[52:55], a[36:39], v176, v170 op_sel_hi:[0,0,0] cbsz:4 blgp:4// 000000005888: D3AC7000 180355B0 D3AD8C24 84926990
	s_add_u32 s20, s20, s68                                    // 000000005898: 80144414
	ds_read_b128 v[76:79], v186 offset:17408                   // 00000000589C: D9FE4400 4C0000BA
	v_mfma_scale_f32_16x16x128_f8f6f4 a[40:43], v[148:151], v[48:51], a[40:43], v176, v170 op_sel_hi:[0,0,0] cbsz:4 blgp:4// 0000000058A4: D3AC6800 180355B0 D3AD8C28 84A26194
	s_addc_u32 s21, 0, s21                                     // 0000000058B4: 82151580
	s_sub_u32 s22, s22, s68                                    // 0000000058B8: 80964416
	v_mfma_scale_f32_16x16x128_f8f6f4 a[44:47], v[148:151], v[52:55], a[44:47], v176, v170 op_sel_hi:[0,0,0] cbsz:4 blgp:4// 0000000058BC: D3AC7800 180355B0 D3AD8C2C 84B26994
	s_add_u32 s63, 0x400, s60                                  // 0000000058CC: 803F3CFF 00000400
	ds_read_b128 v[84:87], v186 offset:17472                   // 0000000058D4: D9FE4440 540000BA
	ds_read_b32 v172, v190 offset:5120                         // 0000000058DC: D86C1400 AC0000BE
	s_waitcnt lgkmcnt(5)                                       // 0000000058E4: BF8CC57F
	v_mfma_scale_f32_16x16x128_f8f6f4 a[48:51], v[136:139], v[56:59], a[48:51], v176, v171 op_sel_hi:[0,0,0] cbsz:4 blgp:4// 0000000058E8: D3AC6000 000357B0 D3AD8C30 84C27188
	s_cmp_lt_u32 s63, s61                                      // 0000000058F8: BF0A3D3F
	buffer_load_dwordx4 v[128:131], v191, s[16:19], 0 offen offset:1024// 0000000058FC: E05C1400 800480BF
	v_mfma_scale_f32_16x16x128_f8f6f4 a[52:55], v[136:139], v[60:63], a[52:55], v176, v171 op_sel_hi:[0,0,0] cbsz:4 blgp:4// 000000005904: D3AC7000 000357B0 D3AD8C34 84D27988
	s_cselect_b32 s67, s67, 0                                  // 000000005914: 85438043
	ds_read_b128 v[88:91], v186 offset:21120                   // 000000005918: D9FE5280 580000BA
	v_mfma_scale_f32_16x16x128_f8f6f4 a[56:59], v[140:143], v[56:59], a[56:59], v176, v171 op_sel_hi:[0,0,0] cbsz:4 blgp:4// 000000005920: D3AC6800 000357B0 D3AD8C38 84E2718C
	s_cselect_b32 s69, s69, 0                                  // 000000005930: 85458045
	v_mfma_scale_f32_16x16x128_f8f6f4 a[60:63], v[140:143], v[60:63], a[60:63], v176, v171 op_sel_hi:[0,0,0] cbsz:4 blgp:4// 000000005934: D3AC7800 000357B0 D3AD8C3C 84F2798C
	ds_read_b128 v[96:99], v186 offset:21184                   // 000000005944: D9FE52C0 600000BA
	v_mfma_scale_f32_16x16x128_f8f6f4 a[48:51], v[144:147], v[64:67], a[48:51], v176, v171 op_sel_hi:[0,0,0] cbsz:4 blgp:4// 00000000594C: D3AC6000 180357B0 D3AD8C30 84C28190
	buffer_load_dwordx4 v[132:135], v192, s[16:19], 0 offen offset:1024// 00000000595C: E05C1400 800484C0
	v_mfma_scale_f32_16x16x128_f8f6f4 a[52:55], v[144:147], v[68:71], a[52:55], v176, v171 op_sel_hi:[0,0,0] cbsz:4 blgp:4// 000000005964: D3AC7000 180357B0 D3AD8C34 84D28990
	ds_read_b128 v[92:95], v186 offset:21632                   // 000000005974: D9FE5480 5C0000BA
	v_mfma_scale_f32_16x16x128_f8f6f4 a[56:59], v[148:151], v[64:67], a[56:59], v176, v171 op_sel_hi:[0,0,0] cbsz:4 blgp:4// 00000000597C: D3AC6800 180357B0 D3AD8C38 84E28194
	v_mfma_scale_f32_16x16x128_f8f6f4 a[60:63], v[148:151], v[68:71], a[60:63], v176, v171 op_sel_hi:[0,0,0] cbsz:4 blgp:4// 00000000598C: D3AC7800 180357B0 D3AD8C3C 84F28994
	ds_read_b128 v[100:103], v186 offset:21696                 // 00000000599C: D9FE54C0 640000BA
	ds_read_b32 v173, v190 offset:5376                         // 0000000059A4: D86C1500 AD0000BE
	s_waitcnt vmcnt(34) lgkmcnt(5)                             // 0000000059AC: BF8C8572
	s_barrier                                                  // 0000000059B0: BF8A0000
	v_mfma_scale_f32_16x16x128_f8f6f4 a[64:67], v[136:139], v[72:75], a[64:67], v176, v172 op_sel_hi:[0,0,0] cbsz:4 blgp:4// 0000000059B4: D3AC6000 000359B0 D3AD8C40 85029188
	buffer_load_dword v175, v193, s[24:27], 0 offen            // 0000000059C4: E0501000 8006AFC1
	v_mfma_scale_f32_16x16x128_f8f6f4 a[68:71], v[136:139], v[76:79], a[68:71], v176, v172 op_sel_hi:[0,0,0] cbsz:4 blgp:4// 0000000059CC: D3AC7000 000359B0 D3AD8C44 85129988
	s_add_u32 s16, s16, s67                                    // 0000000059DC: 80104310
	ds_read_b128 v[8:11], v187                                 // 0000000059E0: D9FE0000 080000BB
	v_mfma_scale_f32_16x16x128_f8f6f4 a[72:75], v[140:143], v[72:75], a[72:75], v176, v172 op_sel_hi:[0,0,0] cbsz:4 blgp:4// 0000000059E8: D3AC6800 000359B0 D3AD8C48 8522918C
	s_addc_u32 s17, 0, s17                                     // 0000000059F8: 82111180
	s_sub_u32 s18, s18, s67                                    // 0000000059FC: 80924312
	v_mfma_scale_f32_16x16x128_f8f6f4 a[76:79], v[140:143], v[76:79], a[76:79], v176, v172 op_sel_hi:[0,0,0] cbsz:4 blgp:4// 000000005A00: D3AC7800 000359B0 D3AD8C4C 8532998C
	s_add_u32 s24, s24, s69                                    // 000000005A10: 80184518
	ds_read_b128 v[16:19], v187 offset:64                      // 000000005A14: D9FE0040 100000BB
	v_mfma_scale_f32_16x16x128_f8f6f4 a[64:67], v[144:147], v[80:83], a[64:67], v176, v172 op_sel_hi:[0,0,0] cbsz:4 blgp:4// 000000005A1C: D3AC6000 180359B0 D3AD8C40 8502A190
	s_addc_u32 s25, 0, s25                                     // 000000005A2C: 82191980
	s_sub_u32 s26, s26, s69                                    // 000000005A30: 809A451A
	v_mfma_scale_f32_16x16x128_f8f6f4 a[68:71], v[144:147], v[84:87], a[68:71], v176, v172 op_sel_hi:[0,0,0] cbsz:4 blgp:4// 000000005A34: D3AC7000 180359B0 D3AD8C44 8512A990
	s_addk_i32 s60, 0x100                                      // 000000005A44: B73C0100
	ds_read_b128 v[12:15], v187 offset:512                     // 000000005A48: D9FE0200 0C0000BB
	v_mfma_scale_f32_16x16x128_f8f6f4 a[72:75], v[148:151], v[80:83], a[72:75], v176, v172 op_sel_hi:[0,0,0] cbsz:4 blgp:4// 000000005A50: D3AC6800 180359B0 D3AD8C48 8522A194
	s_cmp_lt_i32 s60, s61                                      // 000000005A60: BF043D3C
	v_mfma_scale_f32_16x16x128_f8f6f4 a[76:79], v[148:151], v[84:87], a[76:79], v176, v172 op_sel_hi:[0,0,0] cbsz:4 blgp:4// 000000005A64: D3AC7800 180359B0 D3AD8C4C 8532A994
	ds_read_b128 v[20:23], v187 offset:576                     // 000000005A74: D9FE0240 140000BB
	ds_read_b32 v168, v190 offset:6144                         // 000000005A7C: D86C1800 A80000BE
	s_waitcnt lgkmcnt(5)                                       // 000000005A84: BF8CC57F
	v_mfma_scale_f32_16x16x128_f8f6f4 a[80:83], v[136:139], v[88:91], a[80:83], v176, v173 op_sel_hi:[0,0,0] cbsz:4 blgp:4// 000000005A88: D3AC6000 00035BB0 D3AD8C50 8542B188
	v_mfma_scale_f32_16x16x128_f8f6f4 a[84:87], v[136:139], v[92:95], a[84:87], v176, v173 op_sel_hi:[0,0,0] cbsz:4 blgp:4// 000000005A98: D3AC7000 00035BB0 D3AD8C54 8552B988
	ds_read_b128 v[24:27], v187 offset:4224                    // 000000005AA8: D9FE1080 180000BB
	v_mfma_scale_f32_16x16x128_f8f6f4 a[88:91], v[140:143], v[88:91], a[88:91], v176, v173 op_sel_hi:[0,0,0] cbsz:4 blgp:4// 000000005AB0: D3AC6800 00035BB0 D3AD8C58 8562B18C
	v_mfma_scale_f32_16x16x128_f8f6f4 a[92:95], v[140:143], v[92:95], a[92:95], v176, v173 op_sel_hi:[0,0,0] cbsz:4 blgp:4// 000000005AC0: D3AC7800 00035BB0 D3AD8C5C 8572B98C
	ds_read_b128 v[32:35], v187 offset:4288                    // 000000005AD0: D9FE10C0 200000BB
	v_mfma_scale_f32_16x16x128_f8f6f4 a[80:83], v[144:147], v[96:99], a[80:83], v176, v173 op_sel_hi:[0,0,0] cbsz:4 blgp:4// 000000005AD8: D3AC6000 18035BB0 D3AD8C50 8542C190
	v_mfma_scale_f32_16x16x128_f8f6f4 a[84:87], v[144:147], v[100:103], a[84:87], v176, v173 op_sel_hi:[0,0,0] cbsz:4 blgp:4// 000000005AE8: D3AC7000 18035BB0 D3AD8C54 8552C990
	ds_read_b128 v[28:31], v187 offset:4736                    // 000000005AF8: D9FE1280 1C0000BB
	v_mfma_scale_f32_16x16x128_f8f6f4 a[88:91], v[148:151], v[96:99], a[88:91], v176, v173 op_sel_hi:[0,0,0] cbsz:4 blgp:4// 000000005B00: D3AC6800 18035BB0 D3AD8C58 8562C194
	v_mfma_scale_f32_16x16x128_f8f6f4 a[92:95], v[148:151], v[100:103], a[92:95], v176, v173 op_sel_hi:[0,0,0] cbsz:4 blgp:4// 000000005B10: D3AC7800 18035BB0 D3AD8C5C 8572C994
	ds_read_b128 v[36:39], v187 offset:4800                    // 000000005B20: D9FE12C0 240000BB
	ds_read_b32 v169, v190 offset:6400                         // 000000005B28: D86C1900 A90000BE
	s_cbranch_scc0 label_0D15                                  // 000000005B30: BF840148
	s_waitcnt vmcnt(26) lgkmcnt(5)                             // 000000005B34: BF8C457A
	s_barrier                                                  // 000000005B38: BF8A0000
	v_mfma_scale_f32_16x16x128_f8f6f4 a[0:3], v[152:155], v[8:11], a[0:3], v177, v168 op_sel_hi:[0,0,0] cbsz:4 blgp:4// 000000005B3C: D3AC6000 000351B1 D3AD8C00 84021198
	s_add_u32 m0, 0x1000, s65                                  // 000000005B4C: 807C41FF 00001000
	buffer_load_dword v188, s[20:23], 0 offen lds              // 000000005B54: E0511000 800500BC
	v_mfma_scale_f32_16x16x128_f8f6f4 a[4:7], v[152:155], v[12:15], a[4:7], v177, v168 op_sel_hi:[0,0,0] cbsz:4 blgp:4// 000000005B5C: D3AC7000 000351B1 D3AD8C04 84121998
	ds_read_b128 v[40:43], v187 offset:8448                    // 000000005B6C: D9FE2100 280000BB
	v_mfma_scale_f32_16x16x128_f8f6f4 a[8:11], v[156:159], v[8:11], a[8:11], v177, v168 op_sel_hi:[0,0,0] cbsz:4 blgp:4// 000000005B74: D3AC6800 000351B1 D3AD8C08 8422119C
	s_add_u32 m0, 0x1400, s65                                  // 000000005B84: 807C41FF 00001400
	buffer_load_dword v189, s[20:23], 0 offen lds              // 000000005B8C: E0511000 800500BD
	v_mfma_scale_f32_16x16x128_f8f6f4 a[12:15], v[156:159], v[12:15], a[12:15], v177, v168 op_sel_hi:[0,0,0] cbsz:4 blgp:4// 000000005B94: D3AC7800 000351B1 D3AD8C0C 8432199C
	ds_read_b128 v[48:51], v187 offset:8512                    // 000000005BA4: D9FE2140 300000BB
	v_mfma_scale_f32_16x16x128_f8f6f4 a[0:3], v[160:163], v[16:19], a[0:3], v177, v168 op_sel_hi:[0,0,0] cbsz:4 blgp:4// 000000005BAC: D3AC6000 180351B1 D3AD8C00 840221A0
	s_add_u32 m0, 0xc600, s64                                  // 000000005BBC: 807C40FF 0000C600
	buffer_load_dwordx4 v178, s[12:15], 0 offen lds            // 000000005BC4: E05D1000 800300B2
	v_mfma_scale_f32_16x16x128_f8f6f4 a[4:7], v[160:163], v[20:23], a[4:7], v177, v168 op_sel_hi:[0,0,0] cbsz:4 blgp:4// 000000005BCC: D3AC7000 180351B1 D3AD8C04 841229A0
	ds_read_b128 v[44:47], v187 offset:8960                    // 000000005BDC: D9FE2300 2C0000BB
	v_mfma_scale_f32_16x16x128_f8f6f4 a[8:11], v[164:167], v[16:19], a[8:11], v177, v168 op_sel_hi:[0,0,0] cbsz:4 blgp:4// 000000005BE4: D3AC6800 180351B1 D3AD8C08 842221A4
	s_add_u32 m0, 0xd680, s64                                  // 000000005BF4: 807C40FF 0000D680
	buffer_load_dwordx4 v179, s[12:15], 0 offen lds            // 000000005BFC: E05D1000 800300B3
	v_mfma_scale_f32_16x16x128_f8f6f4 a[12:15], v[164:167], v[20:23], a[12:15], v177, v168 op_sel_hi:[0,0,0] cbsz:4 blgp:4// 000000005C04: D3AC7800 180351B1 D3AD8C0C 843229A4
	ds_read_b128 v[52:55], v187 offset:9024                    // 000000005C14: D9FE2340 340000BB
	ds_read_b32 v170, v190 offset:6656                         // 000000005C1C: D86C1A00 AA0000BE
	s_waitcnt lgkmcnt(5)                                       // 000000005C24: BF8CC57F
	v_mfma_scale_f32_16x16x128_f8f6f4 a[16:19], v[152:155], v[24:27], a[16:19], v177, v169 op_sel_hi:[0,0,0] cbsz:4 blgp:4// 000000005C28: D3AC6000 000353B1 D3AD8C10 84423198
	s_add_u32 m0, 0xe700, s64                                  // 000000005C38: 807C40FF 0000E700
	buffer_load_dwordx4 v180, s[12:15], 0 offen lds            // 000000005C40: E05D1000 800300B4
	v_mfma_scale_f32_16x16x128_f8f6f4 a[20:23], v[152:155], v[28:31], a[20:23], v177, v169 op_sel_hi:[0,0,0] cbsz:4 blgp:4// 000000005C48: D3AC7000 000353B1 D3AD8C14 84523998
	ds_read_b128 v[56:59], v187 offset:12672                   // 000000005C58: D9FE3180 380000BB
	v_mfma_scale_f32_16x16x128_f8f6f4 a[24:27], v[156:159], v[24:27], a[24:27], v177, v169 op_sel_hi:[0,0,0] cbsz:4 blgp:4// 000000005C60: D3AC6800 000353B1 D3AD8C18 8462319C
	s_add_u32 m0, 0xf780, s64                                  // 000000005C70: 807C40FF 0000F780
	buffer_load_dwordx4 v181, s[12:15], 0 offen lds            // 000000005C78: E05D1000 800300B5
	v_mfma_scale_f32_16x16x128_f8f6f4 a[28:31], v[156:159], v[28:31], a[28:31], v177, v169 op_sel_hi:[0,0,0] cbsz:4 blgp:4// 000000005C80: D3AC7800 000353B1 D3AD8C1C 8472399C
	ds_read_b128 v[64:67], v187 offset:12736                   // 000000005C90: D9FE31C0 400000BB
	v_mfma_scale_f32_16x16x128_f8f6f4 a[16:19], v[160:163], v[32:35], a[16:19], v177, v169 op_sel_hi:[0,0,0] cbsz:4 blgp:4// 000000005C98: D3AC6000 180353B1 D3AD8C10 844241A0
	s_add_u32 m0, 0x10800, s64                                 // 000000005CA8: 807C40FF 00010800
	buffer_load_dwordx4 v182, s[12:15], 0 offen lds            // 000000005CB0: E05D1000 800300B6
	v_mfma_scale_f32_16x16x128_f8f6f4 a[20:23], v[160:163], v[36:39], a[20:23], v177, v169 op_sel_hi:[0,0,0] cbsz:4 blgp:4// 000000005CB8: D3AC7000 180353B1 D3AD8C14 845249A0
	ds_read_b128 v[60:63], v187 offset:13184                   // 000000005CC8: D9FE3380 3C0000BB
	v_mfma_scale_f32_16x16x128_f8f6f4 a[24:27], v[164:167], v[32:35], a[24:27], v177, v169 op_sel_hi:[0,0,0] cbsz:4 blgp:4// 000000005CD0: D3AC6800 180353B1 D3AD8C18 846241A4
	s_add_u32 m0, 0x11880, s64                                 // 000000005CE0: 807C40FF 00011880
	buffer_load_dwordx4 v183, s[12:15], 0 offen lds            // 000000005CE8: E05D1000 800300B7
	v_mfma_scale_f32_16x16x128_f8f6f4 a[28:31], v[164:167], v[36:39], a[28:31], v177, v169 op_sel_hi:[0,0,0] cbsz:4 blgp:4// 000000005CF0: D3AC7800 180353B1 D3AD8C1C 847249A4
	s_add_u32 s62, 0x400, s60                                  // 000000005D00: 803E3CFF 00000400
	ds_read_b128 v[68:71], v187 offset:13248                   // 000000005D08: D9FE33C0 440000BB
	ds_read_b32 v171, v190 offset:6912                         // 000000005D10: D86C1B00 AB0000BE
	s_waitcnt lgkmcnt(5)                                       // 000000005D18: BF8CC57F
	v_mfma_scale_f32_16x16x128_f8f6f4 a[32:35], v[152:155], v[40:43], a[32:35], v177, v170 op_sel_hi:[0,0,0] cbsz:4 blgp:4// 000000005D1C: D3AC6000 000355B1 D3AD8C20 84825198
	s_cmp_lt_u32 s62, s61                                      // 000000005D2C: BF0A3D3E
	buffer_load_dwordx4 v[136:139], v191, s[16:19], 0 offen    // 000000005D30: E05C1000 800488BF
	v_mfma_scale_f32_16x16x128_f8f6f4 a[36:39], v[152:155], v[44:47], a[36:39], v177, v170 op_sel_hi:[0,0,0] cbsz:4 blgp:4// 000000005D38: D3AC7000 000355B1 D3AD8C24 84925998
	s_cselect_b32 s66, s66, 0                                  // 000000005D48: 85428042
	ds_read_b128 v[72:75], v187 offset:16896                   // 000000005D4C: D9FE4200 480000BB
	v_mfma_scale_f32_16x16x128_f8f6f4 a[40:43], v[156:159], v[40:43], a[40:43], v177, v170 op_sel_hi:[0,0,0] cbsz:4 blgp:4// 000000005D54: D3AC6800 000355B1 D3AD8C28 84A2519C
	s_cselect_b32 s68, s68, 0                                  // 000000005D64: 85448044
	s_add_u32 s12, s12, s66                                    // 000000005D68: 800C420C
	v_mfma_scale_f32_16x16x128_f8f6f4 a[44:47], v[156:159], v[44:47], a[44:47], v177, v170 op_sel_hi:[0,0,0] cbsz:4 blgp:4// 000000005D6C: D3AC7800 000355B1 D3AD8C2C 84B2599C
	s_addc_u32 s13, 0, s13                                     // 000000005D7C: 820D0D80
	ds_read_b128 v[80:83], v187 offset:16960                   // 000000005D80: D9FE4240 500000BB
	v_mfma_scale_f32_16x16x128_f8f6f4 a[32:35], v[160:163], v[48:51], a[32:35], v177, v170 op_sel_hi:[0,0,0] cbsz:4 blgp:4// 000000005D88: D3AC6000 180355B1 D3AD8C20 848261A0
	s_sub_u32 s14, s14, s66                                    // 000000005D98: 808E420E
	buffer_load_dwordx4 v[140:143], v192, s[16:19], 0 offen    // 000000005D9C: E05C1000 80048CC0
	v_mfma_scale_f32_16x16x128_f8f6f4 a[36:39], v[160:163], v[52:55], a[36:39], v177, v170 op_sel_hi:[0,0,0] cbsz:4 blgp:4// 000000005DA4: D3AC7000 180355B1 D3AD8C24 849269A0
	s_add_u32 s20, s20, s68                                    // 000000005DB4: 80144414
	ds_read_b128 v[76:79], v187 offset:17408                   // 000000005DB8: D9FE4400 4C0000BB
	v_mfma_scale_f32_16x16x128_f8f6f4 a[40:43], v[164:167], v[48:51], a[40:43], v177, v170 op_sel_hi:[0,0,0] cbsz:4 blgp:4// 000000005DC0: D3AC6800 180355B1 D3AD8C28 84A261A4
	s_addc_u32 s21, 0, s21                                     // 000000005DD0: 82151580
	s_sub_u32 s22, s22, s68                                    // 000000005DD4: 80964416
	v_mfma_scale_f32_16x16x128_f8f6f4 a[44:47], v[164:167], v[52:55], a[44:47], v177, v170 op_sel_hi:[0,0,0] cbsz:4 blgp:4// 000000005DD8: D3AC7800 180355B1 D3AD8C2C 84B269A4
	s_add_u32 s63, 0x400, s60                                  // 000000005DE8: 803F3CFF 00000400
	ds_read_b128 v[84:87], v187 offset:17472                   // 000000005DF0: D9FE4440 540000BB
	ds_read_b32 v172, v190 offset:7168                         // 000000005DF8: D86C1C00 AC0000BE
	s_waitcnt lgkmcnt(5)                                       // 000000005E00: BF8CC57F
	v_mfma_scale_f32_16x16x128_f8f6f4 a[48:51], v[152:155], v[56:59], a[48:51], v177, v171 op_sel_hi:[0,0,0] cbsz:4 blgp:4// 000000005E04: D3AC6000 000357B1 D3AD8C30 84C27198
	s_cmp_lt_u32 s63, s61                                      // 000000005E14: BF0A3D3F
	buffer_load_dwordx4 v[144:147], v191, s[16:19], 0 offen offset:1024// 000000005E18: E05C1400 800490BF
	v_mfma_scale_f32_16x16x128_f8f6f4 a[52:55], v[152:155], v[60:63], a[52:55], v177, v171 op_sel_hi:[0,0,0] cbsz:4 blgp:4// 000000005E20: D3AC7000 000357B1 D3AD8C34 84D27998
	s_cselect_b32 s67, s67, 0                                  // 000000005E30: 85438043
	ds_read_b128 v[88:91], v187 offset:21120                   // 000000005E34: D9FE5280 580000BB
	v_mfma_scale_f32_16x16x128_f8f6f4 a[56:59], v[156:159], v[56:59], a[56:59], v177, v171 op_sel_hi:[0,0,0] cbsz:4 blgp:4// 000000005E3C: D3AC6800 000357B1 D3AD8C38 84E2719C
	s_cselect_b32 s69, s69, 0                                  // 000000005E4C: 85458045
	v_mfma_scale_f32_16x16x128_f8f6f4 a[60:63], v[156:159], v[60:63], a[60:63], v177, v171 op_sel_hi:[0,0,0] cbsz:4 blgp:4// 000000005E50: D3AC7800 000357B1 D3AD8C3C 84F2799C
	ds_read_b128 v[96:99], v187 offset:21184                   // 000000005E60: D9FE52C0 600000BB
	v_mfma_scale_f32_16x16x128_f8f6f4 a[48:51], v[160:163], v[64:67], a[48:51], v177, v171 op_sel_hi:[0,0,0] cbsz:4 blgp:4// 000000005E68: D3AC6000 180357B1 D3AD8C30 84C281A0
	buffer_load_dwordx4 v[148:151], v192, s[16:19], 0 offen offset:1024// 000000005E78: E05C1400 800494C0
	v_mfma_scale_f32_16x16x128_f8f6f4 a[52:55], v[160:163], v[68:71], a[52:55], v177, v171 op_sel_hi:[0,0,0] cbsz:4 blgp:4// 000000005E80: D3AC7000 180357B1 D3AD8C34 84D289A0
	ds_read_b128 v[92:95], v187 offset:21632                   // 000000005E90: D9FE5480 5C0000BB
	v_mfma_scale_f32_16x16x128_f8f6f4 a[56:59], v[164:167], v[64:67], a[56:59], v177, v171 op_sel_hi:[0,0,0] cbsz:4 blgp:4// 000000005E98: D3AC6800 180357B1 D3AD8C38 84E281A4
	v_mfma_scale_f32_16x16x128_f8f6f4 a[60:63], v[164:167], v[68:71], a[60:63], v177, v171 op_sel_hi:[0,0,0] cbsz:4 blgp:4// 000000005EA8: D3AC7800 180357B1 D3AD8C3C 84F289A4
	ds_read_b128 v[100:103], v187 offset:21696                 // 000000005EB8: D9FE54C0 640000BB
	ds_read_b32 v173, v190 offset:7424                         // 000000005EC0: D86C1D00 AD0000BE
	s_waitcnt vmcnt(34) lgkmcnt(5)                             // 000000005EC8: BF8C8572
	s_barrier                                                  // 000000005ECC: BF8A0000
	v_mfma_scale_f32_16x16x128_f8f6f4 a[64:67], v[152:155], v[72:75], a[64:67], v177, v172 op_sel_hi:[0,0,0] cbsz:4 blgp:4// 000000005ED0: D3AC6000 000359B1 D3AD8C40 85029198
	buffer_load_dword v176, v193, s[24:27], 0 offen            // 000000005EE0: E0501000 8006B0C1
	v_mfma_scale_f32_16x16x128_f8f6f4 a[68:71], v[152:155], v[76:79], a[68:71], v177, v172 op_sel_hi:[0,0,0] cbsz:4 blgp:4// 000000005EE8: D3AC7000 000359B1 D3AD8C44 85129998
	s_add_u32 s16, s16, s67                                    // 000000005EF8: 80104310
	ds_read_b128 v[8:11], v184                                 // 000000005EFC: D9FE0000 080000B8
	v_mfma_scale_f32_16x16x128_f8f6f4 a[72:75], v[156:159], v[72:75], a[72:75], v177, v172 op_sel_hi:[0,0,0] cbsz:4 blgp:4// 000000005F04: D3AC6800 000359B1 D3AD8C48 8522919C
	s_addc_u32 s17, 0, s17                                     // 000000005F14: 82111180
	s_sub_u32 s18, s18, s67                                    // 000000005F18: 80924312
	v_mfma_scale_f32_16x16x128_f8f6f4 a[76:79], v[156:159], v[76:79], a[76:79], v177, v172 op_sel_hi:[0,0,0] cbsz:4 blgp:4// 000000005F1C: D3AC7800 000359B1 D3AD8C4C 8532999C
	s_add_u32 s24, s24, s69                                    // 000000005F2C: 80184518
	ds_read_b128 v[16:19], v184 offset:64                      // 000000005F30: D9FE0040 100000B8
	v_mfma_scale_f32_16x16x128_f8f6f4 a[64:67], v[160:163], v[80:83], a[64:67], v177, v172 op_sel_hi:[0,0,0] cbsz:4 blgp:4// 000000005F38: D3AC6000 180359B1 D3AD8C40 8502A1A0
	s_addc_u32 s25, 0, s25                                     // 000000005F48: 82191980
	s_sub_u32 s26, s26, s69                                    // 000000005F4C: 809A451A
	v_mfma_scale_f32_16x16x128_f8f6f4 a[68:71], v[160:163], v[84:87], a[68:71], v177, v172 op_sel_hi:[0,0,0] cbsz:4 blgp:4// 000000005F50: D3AC7000 180359B1 D3AD8C44 8512A9A0
	s_addk_i32 s60, 0x100                                      // 000000005F60: B73C0100
	ds_read_b128 v[12:15], v184 offset:512                     // 000000005F64: D9FE0200 0C0000B8
	v_mfma_scale_f32_16x16x128_f8f6f4 a[72:75], v[164:167], v[80:83], a[72:75], v177, v172 op_sel_hi:[0,0,0] cbsz:4 blgp:4// 000000005F6C: D3AC6800 180359B1 D3AD8C48 8522A1A4
	s_cmp_lt_i32 s60, s61                                      // 000000005F7C: BF043D3C
	v_mfma_scale_f32_16x16x128_f8f6f4 a[76:79], v[164:167], v[84:87], a[76:79], v177, v172 op_sel_hi:[0,0,0] cbsz:4 blgp:4// 000000005F80: D3AC7800 180359B1 D3AD8C4C 8532A9A4
	ds_read_b128 v[20:23], v184 offset:576                     // 000000005F90: D9FE0240 140000B8
	ds_read_b32 v168, v190                                     // 000000005F98: D86C0000 A80000BE
	s_waitcnt lgkmcnt(5)                                       // 000000005FA0: BF8CC57F
	v_mfma_scale_f32_16x16x128_f8f6f4 a[80:83], v[152:155], v[88:91], a[80:83], v177, v173 op_sel_hi:[0,0,0] cbsz:4 blgp:4// 000000005FA4: D3AC6000 00035BB1 D3AD8C50 8542B198
	v_mfma_scale_f32_16x16x128_f8f6f4 a[84:87], v[152:155], v[92:95], a[84:87], v177, v173 op_sel_hi:[0,0,0] cbsz:4 blgp:4// 000000005FB4: D3AC7000 00035BB1 D3AD8C54 8552B998
	ds_read_b128 v[24:27], v184 offset:4224                    // 000000005FC4: D9FE1080 180000B8
	v_mfma_scale_f32_16x16x128_f8f6f4 a[88:91], v[156:159], v[88:91], a[88:91], v177, v173 op_sel_hi:[0,0,0] cbsz:4 blgp:4// 000000005FCC: D3AC6800 00035BB1 D3AD8C58 8562B19C
	v_mfma_scale_f32_16x16x128_f8f6f4 a[92:95], v[156:159], v[92:95], a[92:95], v177, v173 op_sel_hi:[0,0,0] cbsz:4 blgp:4// 000000005FDC: D3AC7800 00035BB1 D3AD8C5C 8572B99C
	ds_read_b128 v[32:35], v184 offset:4288                    // 000000005FEC: D9FE10C0 200000B8
	v_mfma_scale_f32_16x16x128_f8f6f4 a[80:83], v[160:163], v[96:99], a[80:83], v177, v173 op_sel_hi:[0,0,0] cbsz:4 blgp:4// 000000005FF4: D3AC6000 18035BB1 D3AD8C50 8542C1A0
	v_mfma_scale_f32_16x16x128_f8f6f4 a[84:87], v[160:163], v[100:103], a[84:87], v177, v173 op_sel_hi:[0,0,0] cbsz:4 blgp:4// 000000006004: D3AC7000 18035BB1 D3AD8C54 8552C9A0
	ds_read_b128 v[28:31], v184 offset:4736                    // 000000006014: D9FE1280 1C0000B8
	v_mfma_scale_f32_16x16x128_f8f6f4 a[88:91], v[164:167], v[96:99], a[88:91], v177, v173 op_sel_hi:[0,0,0] cbsz:4 blgp:4// 00000000601C: D3AC6800 18035BB1 D3AD8C58 8562C1A4
	v_mfma_scale_f32_16x16x128_f8f6f4 a[92:95], v[164:167], v[100:103], a[92:95], v177, v173 op_sel_hi:[0,0,0] cbsz:4 blgp:4// 00000000602C: D3AC7800 18035BB1 D3AD8C5C 8572C9A4
	ds_read_b128 v[36:39], v184 offset:4800                    // 00000000603C: D9FE12C0 240000B8
	ds_read_b32 v169, v190 offset:256                          // 000000006044: D86C0100 A90000BE
	s_cbranch_scc0 label_0D15                                  // 00000000604C: BF840001
	s_branch label_07FA                                        // 000000006050: BF82FAE5

0000000000006054 <label_0D15>:
	s_waitcnt lgkmcnt(0)                                       // 000000006054: BF8CC07F
	s_mul_i32 s62, s47, 0x80                                   // 000000006058: 923EFF2F 00000080
	s_mul_i32 s63, s46, 32                                     // 000000006060: 923FA02E
	s_add_u32 s60, s62, s63                                    // 000000006064: 803C3F3E
	s_add_u32 s62, s60, 32                                     // 000000006068: 803EA03C
	s_cmp_lt_i32 s44, s62                                      // 00000000606C: BF043E2C
	s_cbranch_scc1 label_0EA0                                  // 000000006070: BF850183
	s_mul_i32 s62, s36, 16                                     // 000000006074: 923E9024
	v_add_u32_e32 v198, 0, v194                                // 000000006078: 698D8480
	v_accvgpr_read_b32 v8, a0                                  // 00000000607C: D3D84008 18000100
	v_accvgpr_read_b32 v9, a1                                  // 000000006084: D3D84009 18000101
	v_accvgpr_read_b32 v10, a2                                 // 00000000608C: D3D8400A 18000102
	v_accvgpr_read_b32 v11, a3                                 // 000000006094: D3D8400B 18000103
	v_accvgpr_read_b32 v12, a8                                 // 00000000609C: D3D8400C 18000108
	v_accvgpr_read_b32 v13, a9                                 // 0000000060A4: D3D8400D 18000109
	v_accvgpr_read_b32 v14, a10                                // 0000000060AC: D3D8400E 1800010A
	v_accvgpr_read_b32 v15, a11                                // 0000000060B4: D3D8400F 1800010B
	v_cvt_pk_bf16_f32 v16, v8, v9                              // 0000000060BC: D2680010 00021308
	v_cvt_pk_bf16_f32 v17, v10, v11                            // 0000000060C4: D2680011 0002170A
	v_cvt_pk_bf16_f32 v18, v12, v13                            // 0000000060CC: D2680012 00021B0C
	v_cvt_pk_bf16_f32 v19, v14, v15                            // 0000000060D4: D2680013 00021F0E
	s_nop 1                                                    // 0000000060DC: BF800001
	v_permlane16_swap_b32_e32 v16, v18                         // 0000000060E0: 7E20B312
	s_nop 1                                                    // 0000000060E4: BF800001
	v_permlane16_swap_b32_e32 v17, v19                         // 0000000060E8: 7E22B313
	s_nop 1                                                    // 0000000060EC: BF800001
	buffer_store_dwordx4 v[16:19], v198, s[4:7], 0 offen       // 0000000060F0: E07C1000 800110C6
	v_add_u32_e32 v198, s62, v198                              // 0000000060F8: 698D8C3E
	v_accvgpr_read_b32 v8, a4                                  // 0000000060FC: D3D84008 18000104
	v_accvgpr_read_b32 v9, a5                                  // 000000006104: D3D84009 18000105
	v_accvgpr_read_b32 v10, a6                                 // 00000000610C: D3D8400A 18000106
	v_accvgpr_read_b32 v11, a7                                 // 000000006114: D3D8400B 18000107
	v_accvgpr_read_b32 v12, a12                                // 00000000611C: D3D8400C 1800010C
	v_accvgpr_read_b32 v13, a13                                // 000000006124: D3D8400D 1800010D
	v_accvgpr_read_b32 v14, a14                                // 00000000612C: D3D8400E 1800010E
	v_accvgpr_read_b32 v15, a15                                // 000000006134: D3D8400F 1800010F
	v_cvt_pk_bf16_f32 v16, v8, v9                              // 00000000613C: D2680010 00021308
	v_cvt_pk_bf16_f32 v17, v10, v11                            // 000000006144: D2680011 0002170A
	v_cvt_pk_bf16_f32 v18, v12, v13                            // 00000000614C: D2680012 00021B0C
	v_cvt_pk_bf16_f32 v19, v14, v15                            // 000000006154: D2680013 00021F0E
	s_nop 1                                                    // 00000000615C: BF800001
	v_permlane16_swap_b32_e32 v16, v18                         // 000000006160: 7E20B312
	s_nop 1                                                    // 000000006164: BF800001
	v_permlane16_swap_b32_e32 v17, v19                         // 000000006168: 7E22B313
	s_nop 1                                                    // 00000000616C: BF800001
	buffer_store_dwordx4 v[16:19], v198, s[4:7], 0 offen       // 000000006170: E07C1000 800110C6
	v_add_u32_e32 v198, s62, v198                              // 000000006178: 698D8C3E
	v_accvgpr_read_b32 v8, a16                                 // 00000000617C: D3D84008 18000110
	v_accvgpr_read_b32 v9, a17                                 // 000000006184: D3D84009 18000111
	v_accvgpr_read_b32 v10, a18                                // 00000000618C: D3D8400A 18000112
	v_accvgpr_read_b32 v11, a19                                // 000000006194: D3D8400B 18000113
	v_accvgpr_read_b32 v12, a24                                // 00000000619C: D3D8400C 18000118
	v_accvgpr_read_b32 v13, a25                                // 0000000061A4: D3D8400D 18000119
	v_accvgpr_read_b32 v14, a26                                // 0000000061AC: D3D8400E 1800011A
	v_accvgpr_read_b32 v15, a27                                // 0000000061B4: D3D8400F 1800011B
	v_cvt_pk_bf16_f32 v16, v8, v9                              // 0000000061BC: D2680010 00021308
	v_cvt_pk_bf16_f32 v17, v10, v11                            // 0000000061C4: D2680011 0002170A
	v_cvt_pk_bf16_f32 v18, v12, v13                            // 0000000061CC: D2680012 00021B0C
	v_cvt_pk_bf16_f32 v19, v14, v15                            // 0000000061D4: D2680013 00021F0E
	s_nop 1                                                    // 0000000061DC: BF800001
	v_permlane16_swap_b32_e32 v16, v18                         // 0000000061E0: 7E20B312
	s_nop 1                                                    // 0000000061E4: BF800001
	v_permlane16_swap_b32_e32 v17, v19                         // 0000000061E8: 7E22B313
	s_nop 1                                                    // 0000000061EC: BF800001
	buffer_store_dwordx4 v[16:19], v198, s[4:7], 0 offen       // 0000000061F0: E07C1000 800110C6
	v_add_u32_e32 v198, s62, v198                              // 0000000061F8: 698D8C3E
	v_accvgpr_read_b32 v8, a20                                 // 0000000061FC: D3D84008 18000114
	v_accvgpr_read_b32 v9, a21                                 // 000000006204: D3D84009 18000115
	v_accvgpr_read_b32 v10, a22                                // 00000000620C: D3D8400A 18000116
	v_accvgpr_read_b32 v11, a23                                // 000000006214: D3D8400B 18000117
	v_accvgpr_read_b32 v12, a28                                // 00000000621C: D3D8400C 1800011C
	v_accvgpr_read_b32 v13, a29                                // 000000006224: D3D8400D 1800011D
	v_accvgpr_read_b32 v14, a30                                // 00000000622C: D3D8400E 1800011E
	v_accvgpr_read_b32 v15, a31                                // 000000006234: D3D8400F 1800011F
	v_cvt_pk_bf16_f32 v16, v8, v9                              // 00000000623C: D2680010 00021308
	v_cvt_pk_bf16_f32 v17, v10, v11                            // 000000006244: D2680011 0002170A
	v_cvt_pk_bf16_f32 v18, v12, v13                            // 00000000624C: D2680012 00021B0C
	v_cvt_pk_bf16_f32 v19, v14, v15                            // 000000006254: D2680013 00021F0E
	s_nop 1                                                    // 00000000625C: BF800001
	v_permlane16_swap_b32_e32 v16, v18                         // 000000006260: 7E20B312
	s_nop 1                                                    // 000000006264: BF800001
	v_permlane16_swap_b32_e32 v17, v19                         // 000000006268: 7E22B313
	s_nop 1                                                    // 00000000626C: BF800001
	buffer_store_dwordx4 v[16:19], v198, s[4:7], 0 offen       // 000000006270: E07C1000 800110C6
	v_add_u32_e32 v198, s62, v198                              // 000000006278: 698D8C3E
	v_accvgpr_read_b32 v8, a32                                 // 00000000627C: D3D84008 18000120
	v_accvgpr_read_b32 v9, a33                                 // 000000006284: D3D84009 18000121
	v_accvgpr_read_b32 v10, a34                                // 00000000628C: D3D8400A 18000122
	v_accvgpr_read_b32 v11, a35                                // 000000006294: D3D8400B 18000123
	v_accvgpr_read_b32 v12, a40                                // 00000000629C: D3D8400C 18000128
	v_accvgpr_read_b32 v13, a41                                // 0000000062A4: D3D8400D 18000129
	v_accvgpr_read_b32 v14, a42                                // 0000000062AC: D3D8400E 1800012A
	v_accvgpr_read_b32 v15, a43                                // 0000000062B4: D3D8400F 1800012B
	v_cvt_pk_bf16_f32 v16, v8, v9                              // 0000000062BC: D2680010 00021308
	v_cvt_pk_bf16_f32 v17, v10, v11                            // 0000000062C4: D2680011 0002170A
	v_cvt_pk_bf16_f32 v18, v12, v13                            // 0000000062CC: D2680012 00021B0C
	v_cvt_pk_bf16_f32 v19, v14, v15                            // 0000000062D4: D2680013 00021F0E
	s_nop 1                                                    // 0000000062DC: BF800001
	v_permlane16_swap_b32_e32 v16, v18                         // 0000000062E0: 7E20B312
	s_nop 1                                                    // 0000000062E4: BF800001
	v_permlane16_swap_b32_e32 v17, v19                         // 0000000062E8: 7E22B313
	s_nop 1                                                    // 0000000062EC: BF800001
	buffer_store_dwordx4 v[16:19], v198, s[4:7], 0 offen       // 0000000062F0: E07C1000 800110C6
	v_add_u32_e32 v198, s62, v198                              // 0000000062F8: 698D8C3E
	v_accvgpr_read_b32 v8, a36                                 // 0000000062FC: D3D84008 18000124
	v_accvgpr_read_b32 v9, a37                                 // 000000006304: D3D84009 18000125
	v_accvgpr_read_b32 v10, a38                                // 00000000630C: D3D8400A 18000126
	v_accvgpr_read_b32 v11, a39                                // 000000006314: D3D8400B 18000127
	v_accvgpr_read_b32 v12, a44                                // 00000000631C: D3D8400C 1800012C
	v_accvgpr_read_b32 v13, a45                                // 000000006324: D3D8400D 1800012D
	v_accvgpr_read_b32 v14, a46                                // 00000000632C: D3D8400E 1800012E
	v_accvgpr_read_b32 v15, a47                                // 000000006334: D3D8400F 1800012F
	v_cvt_pk_bf16_f32 v16, v8, v9                              // 00000000633C: D2680010 00021308
	v_cvt_pk_bf16_f32 v17, v10, v11                            // 000000006344: D2680011 0002170A
	v_cvt_pk_bf16_f32 v18, v12, v13                            // 00000000634C: D2680012 00021B0C
	v_cvt_pk_bf16_f32 v19, v14, v15                            // 000000006354: D2680013 00021F0E
	s_nop 1                                                    // 00000000635C: BF800001
	v_permlane16_swap_b32_e32 v16, v18                         // 000000006360: 7E20B312
	s_nop 1                                                    // 000000006364: BF800001
	v_permlane16_swap_b32_e32 v17, v19                         // 000000006368: 7E22B313
	s_nop 1                                                    // 00000000636C: BF800001
	buffer_store_dwordx4 v[16:19], v198, s[4:7], 0 offen       // 000000006370: E07C1000 800110C6
	v_add_u32_e32 v198, s62, v198                              // 000000006378: 698D8C3E
	v_accvgpr_read_b32 v8, a48                                 // 00000000637C: D3D84008 18000130
	v_accvgpr_read_b32 v9, a49                                 // 000000006384: D3D84009 18000131
	v_accvgpr_read_b32 v10, a50                                // 00000000638C: D3D8400A 18000132
	v_accvgpr_read_b32 v11, a51                                // 000000006394: D3D8400B 18000133
	v_accvgpr_read_b32 v12, a56                                // 00000000639C: D3D8400C 18000138
	v_accvgpr_read_b32 v13, a57                                // 0000000063A4: D3D8400D 18000139
	v_accvgpr_read_b32 v14, a58                                // 0000000063AC: D3D8400E 1800013A
	v_accvgpr_read_b32 v15, a59                                // 0000000063B4: D3D8400F 1800013B
	v_cvt_pk_bf16_f32 v16, v8, v9                              // 0000000063BC: D2680010 00021308
	v_cvt_pk_bf16_f32 v17, v10, v11                            // 0000000063C4: D2680011 0002170A
	v_cvt_pk_bf16_f32 v18, v12, v13                            // 0000000063CC: D2680012 00021B0C
	v_cvt_pk_bf16_f32 v19, v14, v15                            // 0000000063D4: D2680013 00021F0E
	s_nop 1                                                    // 0000000063DC: BF800001
	v_permlane16_swap_b32_e32 v16, v18                         // 0000000063E0: 7E20B312
	s_nop 1                                                    // 0000000063E4: BF800001
	v_permlane16_swap_b32_e32 v17, v19                         // 0000000063E8: 7E22B313
	s_nop 1                                                    // 0000000063EC: BF800001
	buffer_store_dwordx4 v[16:19], v198, s[4:7], 0 offen       // 0000000063F0: E07C1000 800110C6
	v_add_u32_e32 v198, s62, v198                              // 0000000063F8: 698D8C3E
	v_accvgpr_read_b32 v8, a52                                 // 0000000063FC: D3D84008 18000134
	v_accvgpr_read_b32 v9, a53                                 // 000000006404: D3D84009 18000135
	v_accvgpr_read_b32 v10, a54                                // 00000000640C: D3D8400A 18000136
	v_accvgpr_read_b32 v11, a55                                // 000000006414: D3D8400B 18000137
	v_accvgpr_read_b32 v12, a60                                // 00000000641C: D3D8400C 1800013C
	v_accvgpr_read_b32 v13, a61                                // 000000006424: D3D8400D 1800013D
	v_accvgpr_read_b32 v14, a62                                // 00000000642C: D3D8400E 1800013E
	v_accvgpr_read_b32 v15, a63                                // 000000006434: D3D8400F 1800013F
	v_cvt_pk_bf16_f32 v16, v8, v9                              // 00000000643C: D2680010 00021308
	v_cvt_pk_bf16_f32 v17, v10, v11                            // 000000006444: D2680011 0002170A
	v_cvt_pk_bf16_f32 v18, v12, v13                            // 00000000644C: D2680012 00021B0C
	v_cvt_pk_bf16_f32 v19, v14, v15                            // 000000006454: D2680013 00021F0E
	s_nop 1                                                    // 00000000645C: BF800001
	v_permlane16_swap_b32_e32 v16, v18                         // 000000006460: 7E20B312
	s_nop 1                                                    // 000000006464: BF800001
	v_permlane16_swap_b32_e32 v17, v19                         // 000000006468: 7E22B313
	s_nop 1                                                    // 00000000646C: BF800001
	buffer_store_dwordx4 v[16:19], v198, s[4:7], 0 offen       // 000000006470: E07C1000 800110C6
	v_add_u32_e32 v198, s62, v198                              // 000000006478: 698D8C3E
	v_accvgpr_read_b32 v8, a64                                 // 00000000647C: D3D84008 18000140
	v_accvgpr_read_b32 v9, a65                                 // 000000006484: D3D84009 18000141
	v_accvgpr_read_b32 v10, a66                                // 00000000648C: D3D8400A 18000142
	v_accvgpr_read_b32 v11, a67                                // 000000006494: D3D8400B 18000143
	v_accvgpr_read_b32 v12, a72                                // 00000000649C: D3D8400C 18000148
	v_accvgpr_read_b32 v13, a73                                // 0000000064A4: D3D8400D 18000149
	v_accvgpr_read_b32 v14, a74                                // 0000000064AC: D3D8400E 1800014A
	v_accvgpr_read_b32 v15, a75                                // 0000000064B4: D3D8400F 1800014B
	v_cvt_pk_bf16_f32 v16, v8, v9                              // 0000000064BC: D2680010 00021308
	v_cvt_pk_bf16_f32 v17, v10, v11                            // 0000000064C4: D2680011 0002170A
	v_cvt_pk_bf16_f32 v18, v12, v13                            // 0000000064CC: D2680012 00021B0C
	v_cvt_pk_bf16_f32 v19, v14, v15                            // 0000000064D4: D2680013 00021F0E
	s_nop 1                                                    // 0000000064DC: BF800001
	v_permlane16_swap_b32_e32 v16, v18                         // 0000000064E0: 7E20B312
	s_nop 1                                                    // 0000000064E4: BF800001
	v_permlane16_swap_b32_e32 v17, v19                         // 0000000064E8: 7E22B313
	s_nop 1                                                    // 0000000064EC: BF800001
	buffer_store_dwordx4 v[16:19], v198, s[4:7], 0 offen       // 0000000064F0: E07C1000 800110C6
	v_add_u32_e32 v198, s62, v198                              // 0000000064F8: 698D8C3E
	v_accvgpr_read_b32 v8, a68                                 // 0000000064FC: D3D84008 18000144
	v_accvgpr_read_b32 v9, a69                                 // 000000006504: D3D84009 18000145
	v_accvgpr_read_b32 v10, a70                                // 00000000650C: D3D8400A 18000146
	v_accvgpr_read_b32 v11, a71                                // 000000006514: D3D8400B 18000147
	v_accvgpr_read_b32 v12, a76                                // 00000000651C: D3D8400C 1800014C
	v_accvgpr_read_b32 v13, a77                                // 000000006524: D3D8400D 1800014D
	v_accvgpr_read_b32 v14, a78                                // 00000000652C: D3D8400E 1800014E
	v_accvgpr_read_b32 v15, a79                                // 000000006534: D3D8400F 1800014F
	v_cvt_pk_bf16_f32 v16, v8, v9                              // 00000000653C: D2680010 00021308
	v_cvt_pk_bf16_f32 v17, v10, v11                            // 000000006544: D2680011 0002170A
	v_cvt_pk_bf16_f32 v18, v12, v13                            // 00000000654C: D2680012 00021B0C
	v_cvt_pk_bf16_f32 v19, v14, v15                            // 000000006554: D2680013 00021F0E
	s_nop 1                                                    // 00000000655C: BF800001
	v_permlane16_swap_b32_e32 v16, v18                         // 000000006560: 7E20B312
	s_nop 1                                                    // 000000006564: BF800001
	v_permlane16_swap_b32_e32 v17, v19                         // 000000006568: 7E22B313
	s_nop 1                                                    // 00000000656C: BF800001
	buffer_store_dwordx4 v[16:19], v198, s[4:7], 0 offen       // 000000006570: E07C1000 800110C6
	v_add_u32_e32 v198, s62, v198                              // 000000006578: 698D8C3E
	v_accvgpr_read_b32 v8, a80                                 // 00000000657C: D3D84008 18000150
	v_accvgpr_read_b32 v9, a81                                 // 000000006584: D3D84009 18000151
	v_accvgpr_read_b32 v10, a82                                // 00000000658C: D3D8400A 18000152
	v_accvgpr_read_b32 v11, a83                                // 000000006594: D3D8400B 18000153
	v_accvgpr_read_b32 v12, a88                                // 00000000659C: D3D8400C 18000158
	v_accvgpr_read_b32 v13, a89                                // 0000000065A4: D3D8400D 18000159
	v_accvgpr_read_b32 v14, a90                                // 0000000065AC: D3D8400E 1800015A
	v_accvgpr_read_b32 v15, a91                                // 0000000065B4: D3D8400F 1800015B
	v_cvt_pk_bf16_f32 v16, v8, v9                              // 0000000065BC: D2680010 00021308
	v_cvt_pk_bf16_f32 v17, v10, v11                            // 0000000065C4: D2680011 0002170A
	v_cvt_pk_bf16_f32 v18, v12, v13                            // 0000000065CC: D2680012 00021B0C
	v_cvt_pk_bf16_f32 v19, v14, v15                            // 0000000065D4: D2680013 00021F0E
	s_nop 1                                                    // 0000000065DC: BF800001
	v_permlane16_swap_b32_e32 v16, v18                         // 0000000065E0: 7E20B312
	s_nop 1                                                    // 0000000065E4: BF800001
	v_permlane16_swap_b32_e32 v17, v19                         // 0000000065E8: 7E22B313
	s_nop 1                                                    // 0000000065EC: BF800001
	buffer_store_dwordx4 v[16:19], v198, s[4:7], 0 offen       // 0000000065F0: E07C1000 800110C6
	v_add_u32_e32 v198, s62, v198                              // 0000000065F8: 698D8C3E
	v_accvgpr_read_b32 v8, a84                                 // 0000000065FC: D3D84008 18000154
	v_accvgpr_read_b32 v9, a85                                 // 000000006604: D3D84009 18000155
	v_accvgpr_read_b32 v10, a86                                // 00000000660C: D3D8400A 18000156
	v_accvgpr_read_b32 v11, a87                                // 000000006614: D3D8400B 18000157
	v_accvgpr_read_b32 v12, a92                                // 00000000661C: D3D8400C 1800015C
	v_accvgpr_read_b32 v13, a93                                // 000000006624: D3D8400D 1800015D
	v_accvgpr_read_b32 v14, a94                                // 00000000662C: D3D8400E 1800015E
	v_accvgpr_read_b32 v15, a95                                // 000000006634: D3D8400F 1800015F
	v_cvt_pk_bf16_f32 v16, v8, v9                              // 00000000663C: D2680010 00021308
	v_cvt_pk_bf16_f32 v17, v10, v11                            // 000000006644: D2680011 0002170A
	v_cvt_pk_bf16_f32 v18, v12, v13                            // 00000000664C: D2680012 00021B0C
	v_cvt_pk_bf16_f32 v19, v14, v15                            // 000000006654: D2680013 00021F0E
	s_nop 1                                                    // 00000000665C: BF800001
	v_permlane16_swap_b32_e32 v16, v18                         // 000000006660: 7E20B312
	s_nop 1                                                    // 000000006664: BF800001
	v_permlane16_swap_b32_e32 v17, v19                         // 000000006668: 7E22B313
	s_nop 1                                                    // 00000000666C: BF800001
	buffer_store_dwordx4 v[16:19], v198, s[4:7], 0 offen       // 000000006670: E07C1000 800110C6
	v_add_u32_e32 v198, s62, v198                              // 000000006678: 698D8C3E
	s_branch label_1025                                        // 00000000667C: BF820185

0000000000006680 <label_0EA0>:
	s_mul_i32 s62, s36, 16                                     // 000000006680: 923E9024
	s_cmp_lt_i32 s60, s44                                      // 000000006684: BF042C3C
	s_cbranch_scc0 label_1025                                  // 000000006688: BF840182
	s_addk_i32 s60, 0x20                                       // 00000000668C: B73C0020
	v_add_u32_e32 v198, 0, v194                                // 000000006690: 698D8480
	v_accvgpr_read_b32 v8, a0                                  // 000000006694: D3D84008 18000100
	v_accvgpr_read_b32 v9, a1                                  // 00000000669C: D3D84009 18000101
	v_accvgpr_read_b32 v10, a2                                 // 0000000066A4: D3D8400A 18000102
	v_accvgpr_read_b32 v11, a3                                 // 0000000066AC: D3D8400B 18000103
	v_accvgpr_read_b32 v12, a8                                 // 0000000066B4: D3D8400C 18000108
	v_accvgpr_read_b32 v13, a9                                 // 0000000066BC: D3D8400D 18000109
	v_accvgpr_read_b32 v14, a10                                // 0000000066C4: D3D8400E 1800010A
	v_accvgpr_read_b32 v15, a11                                // 0000000066CC: D3D8400F 1800010B
	v_cvt_pk_bf16_f32 v16, v8, v9                              // 0000000066D4: D2680010 00021308
	v_cvt_pk_bf16_f32 v17, v10, v11                            // 0000000066DC: D2680011 0002170A
	v_cvt_pk_bf16_f32 v18, v12, v13                            // 0000000066E4: D2680012 00021B0C
	v_cvt_pk_bf16_f32 v19, v14, v15                            // 0000000066EC: D2680013 00021F0E
	s_nop 1                                                    // 0000000066F4: BF800001
	v_permlane16_swap_b32_e32 v16, v18                         // 0000000066F8: 7E20B312
	s_nop 1                                                    // 0000000066FC: BF800001
	v_permlane16_swap_b32_e32 v17, v19                         // 000000006700: 7E22B313
	s_nop 1                                                    // 000000006704: BF800001
	buffer_store_dwordx4 v[16:19], v198, s[4:7], 0 offen       // 000000006708: E07C1000 800110C6
	v_add_u32_e32 v198, s62, v198                              // 000000006710: 698D8C3E
	v_accvgpr_read_b32 v8, a4                                  // 000000006714: D3D84008 18000104
	v_accvgpr_read_b32 v9, a5                                  // 00000000671C: D3D84009 18000105
	v_accvgpr_read_b32 v10, a6                                 // 000000006724: D3D8400A 18000106
	v_accvgpr_read_b32 v11, a7                                 // 00000000672C: D3D8400B 18000107
	v_accvgpr_read_b32 v12, a12                                // 000000006734: D3D8400C 1800010C
	v_accvgpr_read_b32 v13, a13                                // 00000000673C: D3D8400D 1800010D
	v_accvgpr_read_b32 v14, a14                                // 000000006744: D3D8400E 1800010E
	v_accvgpr_read_b32 v15, a15                                // 00000000674C: D3D8400F 1800010F
	v_cvt_pk_bf16_f32 v16, v8, v9                              // 000000006754: D2680010 00021308
	v_cvt_pk_bf16_f32 v17, v10, v11                            // 00000000675C: D2680011 0002170A
	v_cvt_pk_bf16_f32 v18, v12, v13                            // 000000006764: D2680012 00021B0C
	v_cvt_pk_bf16_f32 v19, v14, v15                            // 00000000676C: D2680013 00021F0E
	s_nop 1                                                    // 000000006774: BF800001
	v_permlane16_swap_b32_e32 v16, v18                         // 000000006778: 7E20B312
	s_nop 1                                                    // 00000000677C: BF800001
	v_permlane16_swap_b32_e32 v17, v19                         // 000000006780: 7E22B313
	s_nop 1                                                    // 000000006784: BF800001
	buffer_store_dwordx4 v[16:19], v198, s[4:7], 0 offen       // 000000006788: E07C1000 800110C6
	v_add_u32_e32 v198, s62, v198                              // 000000006790: 698D8C3E
	v_accvgpr_read_b32 v8, a16                                 // 000000006794: D3D84008 18000110
	v_accvgpr_read_b32 v9, a17                                 // 00000000679C: D3D84009 18000111
	v_accvgpr_read_b32 v10, a18                                // 0000000067A4: D3D8400A 18000112
	v_accvgpr_read_b32 v11, a19                                // 0000000067AC: D3D8400B 18000113
	v_accvgpr_read_b32 v12, a24                                // 0000000067B4: D3D8400C 18000118
	v_accvgpr_read_b32 v13, a25                                // 0000000067BC: D3D8400D 18000119
	v_accvgpr_read_b32 v14, a26                                // 0000000067C4: D3D8400E 1800011A
	v_accvgpr_read_b32 v15, a27                                // 0000000067CC: D3D8400F 1800011B
	v_cvt_pk_bf16_f32 v16, v8, v9                              // 0000000067D4: D2680010 00021308
	v_cvt_pk_bf16_f32 v17, v10, v11                            // 0000000067DC: D2680011 0002170A
	v_cvt_pk_bf16_f32 v18, v12, v13                            // 0000000067E4: D2680012 00021B0C
	v_cvt_pk_bf16_f32 v19, v14, v15                            // 0000000067EC: D2680013 00021F0E
	s_nop 1                                                    // 0000000067F4: BF800001
	v_permlane16_swap_b32_e32 v16, v18                         // 0000000067F8: 7E20B312
	s_nop 1                                                    // 0000000067FC: BF800001
	v_permlane16_swap_b32_e32 v17, v19                         // 000000006800: 7E22B313
	s_nop 1                                                    // 000000006804: BF800001
	buffer_store_dwordx4 v[16:19], v198, s[4:7], 0 offen       // 000000006808: E07C1000 800110C6
	v_add_u32_e32 v198, s62, v198                              // 000000006810: 698D8C3E
	v_accvgpr_read_b32 v8, a20                                 // 000000006814: D3D84008 18000114
	v_accvgpr_read_b32 v9, a21                                 // 00000000681C: D3D84009 18000115
	v_accvgpr_read_b32 v10, a22                                // 000000006824: D3D8400A 18000116
	v_accvgpr_read_b32 v11, a23                                // 00000000682C: D3D8400B 18000117
	v_accvgpr_read_b32 v12, a28                                // 000000006834: D3D8400C 1800011C
	v_accvgpr_read_b32 v13, a29                                // 00000000683C: D3D8400D 1800011D
	v_accvgpr_read_b32 v14, a30                                // 000000006844: D3D8400E 1800011E
	v_accvgpr_read_b32 v15, a31                                // 00000000684C: D3D8400F 1800011F
	v_cvt_pk_bf16_f32 v16, v8, v9                              // 000000006854: D2680010 00021308
	v_cvt_pk_bf16_f32 v17, v10, v11                            // 00000000685C: D2680011 0002170A
	v_cvt_pk_bf16_f32 v18, v12, v13                            // 000000006864: D2680012 00021B0C
	v_cvt_pk_bf16_f32 v19, v14, v15                            // 00000000686C: D2680013 00021F0E
	s_nop 1                                                    // 000000006874: BF800001
	v_permlane16_swap_b32_e32 v16, v18                         // 000000006878: 7E20B312
	s_nop 1                                                    // 00000000687C: BF800001
	v_permlane16_swap_b32_e32 v17, v19                         // 000000006880: 7E22B313
	s_nop 1                                                    // 000000006884: BF800001
	buffer_store_dwordx4 v[16:19], v198, s[4:7], 0 offen       // 000000006888: E07C1000 800110C6
	v_add_u32_e32 v198, s62, v198                              // 000000006890: 698D8C3E
	v_accvgpr_read_b32 v8, a32                                 // 000000006894: D3D84008 18000120
	v_accvgpr_read_b32 v9, a33                                 // 00000000689C: D3D84009 18000121
	v_accvgpr_read_b32 v10, a34                                // 0000000068A4: D3D8400A 18000122
	v_accvgpr_read_b32 v11, a35                                // 0000000068AC: D3D8400B 18000123
	v_accvgpr_read_b32 v12, a40                                // 0000000068B4: D3D8400C 18000128
	v_accvgpr_read_b32 v13, a41                                // 0000000068BC: D3D8400D 18000129
	v_accvgpr_read_b32 v14, a42                                // 0000000068C4: D3D8400E 1800012A
	v_accvgpr_read_b32 v15, a43                                // 0000000068CC: D3D8400F 1800012B
	v_cvt_pk_bf16_f32 v16, v8, v9                              // 0000000068D4: D2680010 00021308
	v_cvt_pk_bf16_f32 v17, v10, v11                            // 0000000068DC: D2680011 0002170A
	v_cvt_pk_bf16_f32 v18, v12, v13                            // 0000000068E4: D2680012 00021B0C
	v_cvt_pk_bf16_f32 v19, v14, v15                            // 0000000068EC: D2680013 00021F0E
	s_nop 1                                                    // 0000000068F4: BF800001
	v_permlane16_swap_b32_e32 v16, v18                         // 0000000068F8: 7E20B312
	s_nop 1                                                    // 0000000068FC: BF800001
	v_permlane16_swap_b32_e32 v17, v19                         // 000000006900: 7E22B313
	s_nop 1                                                    // 000000006904: BF800001
	buffer_store_dwordx4 v[16:19], v198, s[4:7], 0 offen       // 000000006908: E07C1000 800110C6
	v_add_u32_e32 v198, s62, v198                              // 000000006910: 698D8C3E
	v_accvgpr_read_b32 v8, a36                                 // 000000006914: D3D84008 18000124
	v_accvgpr_read_b32 v9, a37                                 // 00000000691C: D3D84009 18000125
	v_accvgpr_read_b32 v10, a38                                // 000000006924: D3D8400A 18000126
	v_accvgpr_read_b32 v11, a39                                // 00000000692C: D3D8400B 18000127
	v_accvgpr_read_b32 v12, a44                                // 000000006934: D3D8400C 1800012C
	v_accvgpr_read_b32 v13, a45                                // 00000000693C: D3D8400D 1800012D
	v_accvgpr_read_b32 v14, a46                                // 000000006944: D3D8400E 1800012E
	v_accvgpr_read_b32 v15, a47                                // 00000000694C: D3D8400F 1800012F
	v_cvt_pk_bf16_f32 v16, v8, v9                              // 000000006954: D2680010 00021308
	v_cvt_pk_bf16_f32 v17, v10, v11                            // 00000000695C: D2680011 0002170A
	v_cvt_pk_bf16_f32 v18, v12, v13                            // 000000006964: D2680012 00021B0C
	v_cvt_pk_bf16_f32 v19, v14, v15                            // 00000000696C: D2680013 00021F0E
	s_nop 1                                                    // 000000006974: BF800001
	v_permlane16_swap_b32_e32 v16, v18                         // 000000006978: 7E20B312
	s_nop 1                                                    // 00000000697C: BF800001
	v_permlane16_swap_b32_e32 v17, v19                         // 000000006980: 7E22B313
	s_nop 1                                                    // 000000006984: BF800001
	buffer_store_dwordx4 v[16:19], v198, s[4:7], 0 offen       // 000000006988: E07C1000 800110C6
	v_add_u32_e32 v198, s62, v198                              // 000000006990: 698D8C3E
	v_accvgpr_read_b32 v8, a48                                 // 000000006994: D3D84008 18000130
	v_accvgpr_read_b32 v9, a49                                 // 00000000699C: D3D84009 18000131
	v_accvgpr_read_b32 v10, a50                                // 0000000069A4: D3D8400A 18000132
	v_accvgpr_read_b32 v11, a51                                // 0000000069AC: D3D8400B 18000133
	v_accvgpr_read_b32 v12, a56                                // 0000000069B4: D3D8400C 18000138
	v_accvgpr_read_b32 v13, a57                                // 0000000069BC: D3D8400D 18000139
	v_accvgpr_read_b32 v14, a58                                // 0000000069C4: D3D8400E 1800013A
	v_accvgpr_read_b32 v15, a59                                // 0000000069CC: D3D8400F 1800013B
	v_cvt_pk_bf16_f32 v16, v8, v9                              // 0000000069D4: D2680010 00021308
	v_cvt_pk_bf16_f32 v17, v10, v11                            // 0000000069DC: D2680011 0002170A
	v_cvt_pk_bf16_f32 v18, v12, v13                            // 0000000069E4: D2680012 00021B0C
	v_cvt_pk_bf16_f32 v19, v14, v15                            // 0000000069EC: D2680013 00021F0E
	s_nop 1                                                    // 0000000069F4: BF800001
	v_permlane16_swap_b32_e32 v16, v18                         // 0000000069F8: 7E20B312
	s_nop 1                                                    // 0000000069FC: BF800001
	v_permlane16_swap_b32_e32 v17, v19                         // 000000006A00: 7E22B313
	s_nop 1                                                    // 000000006A04: BF800001
	buffer_store_dwordx4 v[16:19], v198, s[4:7], 0 offen       // 000000006A08: E07C1000 800110C6
	v_add_u32_e32 v198, s62, v198                              // 000000006A10: 698D8C3E
	v_accvgpr_read_b32 v8, a52                                 // 000000006A14: D3D84008 18000134
	v_accvgpr_read_b32 v9, a53                                 // 000000006A1C: D3D84009 18000135
	v_accvgpr_read_b32 v10, a54                                // 000000006A24: D3D8400A 18000136
	v_accvgpr_read_b32 v11, a55                                // 000000006A2C: D3D8400B 18000137
	v_accvgpr_read_b32 v12, a60                                // 000000006A34: D3D8400C 1800013C
	v_accvgpr_read_b32 v13, a61                                // 000000006A3C: D3D8400D 1800013D
	v_accvgpr_read_b32 v14, a62                                // 000000006A44: D3D8400E 1800013E
	v_accvgpr_read_b32 v15, a63                                // 000000006A4C: D3D8400F 1800013F
	v_cvt_pk_bf16_f32 v16, v8, v9                              // 000000006A54: D2680010 00021308
	v_cvt_pk_bf16_f32 v17, v10, v11                            // 000000006A5C: D2680011 0002170A
	v_cvt_pk_bf16_f32 v18, v12, v13                            // 000000006A64: D2680012 00021B0C
	v_cvt_pk_bf16_f32 v19, v14, v15                            // 000000006A6C: D2680013 00021F0E
	s_nop 1                                                    // 000000006A74: BF800001
	v_permlane16_swap_b32_e32 v16, v18                         // 000000006A78: 7E20B312
	s_nop 1                                                    // 000000006A7C: BF800001
	v_permlane16_swap_b32_e32 v17, v19                         // 000000006A80: 7E22B313
	s_nop 1                                                    // 000000006A84: BF800001
	buffer_store_dwordx4 v[16:19], v198, s[4:7], 0 offen       // 000000006A88: E07C1000 800110C6
	v_add_u32_e32 v198, s62, v198                              // 000000006A90: 698D8C3E
	v_accvgpr_read_b32 v8, a64                                 // 000000006A94: D3D84008 18000140
	v_accvgpr_read_b32 v9, a65                                 // 000000006A9C: D3D84009 18000141
	v_accvgpr_read_b32 v10, a66                                // 000000006AA4: D3D8400A 18000142
	v_accvgpr_read_b32 v11, a67                                // 000000006AAC: D3D8400B 18000143
	v_accvgpr_read_b32 v12, a72                                // 000000006AB4: D3D8400C 18000148
	v_accvgpr_read_b32 v13, a73                                // 000000006ABC: D3D8400D 18000149
	v_accvgpr_read_b32 v14, a74                                // 000000006AC4: D3D8400E 1800014A
	v_accvgpr_read_b32 v15, a75                                // 000000006ACC: D3D8400F 1800014B
	v_cvt_pk_bf16_f32 v16, v8, v9                              // 000000006AD4: D2680010 00021308
	v_cvt_pk_bf16_f32 v17, v10, v11                            // 000000006ADC: D2680011 0002170A
	v_cvt_pk_bf16_f32 v18, v12, v13                            // 000000006AE4: D2680012 00021B0C
	v_cvt_pk_bf16_f32 v19, v14, v15                            // 000000006AEC: D2680013 00021F0E
	s_nop 1                                                    // 000000006AF4: BF800001
	v_permlane16_swap_b32_e32 v16, v18                         // 000000006AF8: 7E20B312
	s_nop 1                                                    // 000000006AFC: BF800001
	v_permlane16_swap_b32_e32 v17, v19                         // 000000006B00: 7E22B313
	s_nop 1                                                    // 000000006B04: BF800001
	buffer_store_dwordx4 v[16:19], v198, s[4:7], 0 offen       // 000000006B08: E07C1000 800110C6
	v_add_u32_e32 v198, s62, v198                              // 000000006B10: 698D8C3E
	v_accvgpr_read_b32 v8, a68                                 // 000000006B14: D3D84008 18000144
	v_accvgpr_read_b32 v9, a69                                 // 000000006B1C: D3D84009 18000145
	v_accvgpr_read_b32 v10, a70                                // 000000006B24: D3D8400A 18000146
	v_accvgpr_read_b32 v11, a71                                // 000000006B2C: D3D8400B 18000147
	v_accvgpr_read_b32 v12, a76                                // 000000006B34: D3D8400C 1800014C
	v_accvgpr_read_b32 v13, a77                                // 000000006B3C: D3D8400D 1800014D
	v_accvgpr_read_b32 v14, a78                                // 000000006B44: D3D8400E 1800014E
	v_accvgpr_read_b32 v15, a79                                // 000000006B4C: D3D8400F 1800014F
	v_cvt_pk_bf16_f32 v16, v8, v9                              // 000000006B54: D2680010 00021308
	v_cvt_pk_bf16_f32 v17, v10, v11                            // 000000006B5C: D2680011 0002170A
	v_cvt_pk_bf16_f32 v18, v12, v13                            // 000000006B64: D2680012 00021B0C
	v_cvt_pk_bf16_f32 v19, v14, v15                            // 000000006B6C: D2680013 00021F0E
	s_nop 1                                                    // 000000006B74: BF800001
	v_permlane16_swap_b32_e32 v16, v18                         // 000000006B78: 7E20B312
	s_nop 1                                                    // 000000006B7C: BF800001
	v_permlane16_swap_b32_e32 v17, v19                         // 000000006B80: 7E22B313
	s_nop 1                                                    // 000000006B84: BF800001
	buffer_store_dwordx4 v[16:19], v198, s[4:7], 0 offen       // 000000006B88: E07C1000 800110C6
	v_add_u32_e32 v198, s62, v198                              // 000000006B90: 698D8C3E
	v_accvgpr_read_b32 v8, a80                                 // 000000006B94: D3D84008 18000150
	v_accvgpr_read_b32 v9, a81                                 // 000000006B9C: D3D84009 18000151
	v_accvgpr_read_b32 v10, a82                                // 000000006BA4: D3D8400A 18000152
	v_accvgpr_read_b32 v11, a83                                // 000000006BAC: D3D8400B 18000153
	v_accvgpr_read_b32 v12, a88                                // 000000006BB4: D3D8400C 18000158
	v_accvgpr_read_b32 v13, a89                                // 000000006BBC: D3D8400D 18000159
	v_accvgpr_read_b32 v14, a90                                // 000000006BC4: D3D8400E 1800015A
	v_accvgpr_read_b32 v15, a91                                // 000000006BCC: D3D8400F 1800015B
	v_cvt_pk_bf16_f32 v16, v8, v9                              // 000000006BD4: D2680010 00021308
	v_cvt_pk_bf16_f32 v17, v10, v11                            // 000000006BDC: D2680011 0002170A
	v_cvt_pk_bf16_f32 v18, v12, v13                            // 000000006BE4: D2680012 00021B0C
	v_cvt_pk_bf16_f32 v19, v14, v15                            // 000000006BEC: D2680013 00021F0E
	s_nop 1                                                    // 000000006BF4: BF800001
	v_permlane16_swap_b32_e32 v16, v18                         // 000000006BF8: 7E20B312
	s_nop 1                                                    // 000000006BFC: BF800001
	v_permlane16_swap_b32_e32 v17, v19                         // 000000006C00: 7E22B313
	s_nop 1                                                    // 000000006C04: BF800001
	buffer_store_dwordx4 v[16:19], v198, s[4:7], 0 offen       // 000000006C08: E07C1000 800110C6
	v_add_u32_e32 v198, s62, v198                              // 000000006C10: 698D8C3E
	v_accvgpr_read_b32 v8, a84                                 // 000000006C14: D3D84008 18000154
	v_accvgpr_read_b32 v9, a85                                 // 000000006C1C: D3D84009 18000155
	v_accvgpr_read_b32 v10, a86                                // 000000006C24: D3D8400A 18000156
	v_accvgpr_read_b32 v11, a87                                // 000000006C2C: D3D8400B 18000157
	v_accvgpr_read_b32 v12, a92                                // 000000006C34: D3D8400C 1800015C
	v_accvgpr_read_b32 v13, a93                                // 000000006C3C: D3D8400D 1800015D
	v_accvgpr_read_b32 v14, a94                                // 000000006C44: D3D8400E 1800015E
	v_accvgpr_read_b32 v15, a95                                // 000000006C4C: D3D8400F 1800015F
	v_cvt_pk_bf16_f32 v16, v8, v9                              // 000000006C54: D2680010 00021308
	v_cvt_pk_bf16_f32 v17, v10, v11                            // 000000006C5C: D2680011 0002170A
	v_cvt_pk_bf16_f32 v18, v12, v13                            // 000000006C64: D2680012 00021B0C
	v_cvt_pk_bf16_f32 v19, v14, v15                            // 000000006C6C: D2680013 00021F0E
	s_nop 1                                                    // 000000006C74: BF800001
	v_permlane16_swap_b32_e32 v16, v18                         // 000000006C78: 7E20B312
	s_nop 1                                                    // 000000006C7C: BF800001
	v_permlane16_swap_b32_e32 v17, v19                         // 000000006C80: 7E22B313
	s_nop 1                                                    // 000000006C84: BF800001
	buffer_store_dwordx4 v[16:19], v198, s[4:7], 0 offen       // 000000006C88: E07C1000 800110C6
	v_add_u32_e32 v198, s62, v198                              // 000000006C90: 698D8C3E

0000000000006c94 <label_1025>:
	s_waitcnt vmcnt(0) expcnt(0) lgkmcnt(0)                    // 000000006C94: BF8C0000
	s_endpgm                                                   // 000000006C98: BF810000
